;; amdgpu-corpus repo=ROCm/rocFFT kind=compiled arch=gfx1201 opt=O3
	.text
	.amdgcn_target "amdgcn-amd-amdhsa--gfx1201"
	.amdhsa_code_object_version 6
	.protected	fft_rtc_fwd_len1925_factors_7_11_5_5_wgs_55_tpt_55_halfLds_dp_ip_CI_unitstride_sbrr_dirReg ; -- Begin function fft_rtc_fwd_len1925_factors_7_11_5_5_wgs_55_tpt_55_halfLds_dp_ip_CI_unitstride_sbrr_dirReg
	.globl	fft_rtc_fwd_len1925_factors_7_11_5_5_wgs_55_tpt_55_halfLds_dp_ip_CI_unitstride_sbrr_dirReg
	.p2align	8
	.type	fft_rtc_fwd_len1925_factors_7_11_5_5_wgs_55_tpt_55_halfLds_dp_ip_CI_unitstride_sbrr_dirReg,@function
fft_rtc_fwd_len1925_factors_7_11_5_5_wgs_55_tpt_55_halfLds_dp_ip_CI_unitstride_sbrr_dirReg: ; @fft_rtc_fwd_len1925_factors_7_11_5_5_wgs_55_tpt_55_halfLds_dp_ip_CI_unitstride_sbrr_dirReg
; %bb.0:
	s_clause 0x2
	s_load_b128 s[4:7], s[0:1], 0x0
	s_load_b64 s[8:9], s[0:1], 0x50
	s_load_b64 s[10:11], s[0:1], 0x18
	v_mul_u32_u24_e32 v1, 0x4a8, v0
	v_mov_b32_e32 v3, 0
	s_delay_alu instid0(VALU_DEP_2) | instskip(NEXT) | instid1(VALU_DEP_1)
	v_lshrrev_b32_e32 v1, 16, v1
	v_add_nc_u32_e32 v5, ttmp9, v1
	v_mov_b32_e32 v1, 0
	v_mov_b32_e32 v2, 0
	;; [unrolled: 1-line block ×3, first 2 shown]
	s_wait_kmcnt 0x0
	v_cmp_lt_u64_e64 s2, s[6:7], 2
	s_delay_alu instid0(VALU_DEP_1)
	s_and_b32 vcc_lo, exec_lo, s2
	s_cbranch_vccnz .LBB0_8
; %bb.1:
	s_load_b64 s[2:3], s[0:1], 0x10
	v_mov_b32_e32 v1, 0
	v_mov_b32_e32 v2, 0
	s_add_nc_u64 s[12:13], s[10:11], 8
	s_mov_b64 s[14:15], 1
	s_wait_kmcnt 0x0
	s_add_nc_u64 s[16:17], s[2:3], 8
	s_mov_b32 s3, 0
.LBB0_2:                                ; =>This Inner Loop Header: Depth=1
	s_load_b64 s[18:19], s[16:17], 0x0
                                        ; implicit-def: $vgpr7_vgpr8
	s_mov_b32 s2, exec_lo
	s_wait_kmcnt 0x0
	v_or_b32_e32 v4, s19, v6
	s_delay_alu instid0(VALU_DEP_1)
	v_cmpx_ne_u64_e32 0, v[3:4]
	s_wait_alu 0xfffe
	s_xor_b32 s20, exec_lo, s2
	s_cbranch_execz .LBB0_4
; %bb.3:                                ;   in Loop: Header=BB0_2 Depth=1
	s_cvt_f32_u32 s2, s18
	s_cvt_f32_u32 s21, s19
	s_sub_nc_u64 s[24:25], 0, s[18:19]
	s_wait_alu 0xfffe
	s_delay_alu instid0(SALU_CYCLE_1) | instskip(SKIP_1) | instid1(SALU_CYCLE_2)
	s_fmamk_f32 s2, s21, 0x4f800000, s2
	s_wait_alu 0xfffe
	v_s_rcp_f32 s2, s2
	s_delay_alu instid0(TRANS32_DEP_1) | instskip(SKIP_1) | instid1(SALU_CYCLE_2)
	s_mul_f32 s2, s2, 0x5f7ffffc
	s_wait_alu 0xfffe
	s_mul_f32 s21, s2, 0x2f800000
	s_wait_alu 0xfffe
	s_delay_alu instid0(SALU_CYCLE_2) | instskip(SKIP_1) | instid1(SALU_CYCLE_2)
	s_trunc_f32 s21, s21
	s_wait_alu 0xfffe
	s_fmamk_f32 s2, s21, 0xcf800000, s2
	s_cvt_u32_f32 s23, s21
	s_wait_alu 0xfffe
	s_delay_alu instid0(SALU_CYCLE_1) | instskip(SKIP_1) | instid1(SALU_CYCLE_2)
	s_cvt_u32_f32 s22, s2
	s_wait_alu 0xfffe
	s_mul_u64 s[26:27], s[24:25], s[22:23]
	s_wait_alu 0xfffe
	s_mul_hi_u32 s29, s22, s27
	s_mul_i32 s28, s22, s27
	s_mul_hi_u32 s2, s22, s26
	s_mul_i32 s30, s23, s26
	s_wait_alu 0xfffe
	s_add_nc_u64 s[28:29], s[2:3], s[28:29]
	s_mul_hi_u32 s21, s23, s26
	s_mul_hi_u32 s31, s23, s27
	s_add_co_u32 s2, s28, s30
	s_wait_alu 0xfffe
	s_add_co_ci_u32 s2, s29, s21
	s_mul_i32 s26, s23, s27
	s_add_co_ci_u32 s27, s31, 0
	s_wait_alu 0xfffe
	s_add_nc_u64 s[26:27], s[2:3], s[26:27]
	s_wait_alu 0xfffe
	v_add_co_u32 v4, s2, s22, s26
	s_delay_alu instid0(VALU_DEP_1) | instskip(SKIP_1) | instid1(VALU_DEP_1)
	s_cmp_lg_u32 s2, 0
	s_add_co_ci_u32 s23, s23, s27
	v_readfirstlane_b32 s22, v4
	s_wait_alu 0xfffe
	s_delay_alu instid0(VALU_DEP_1)
	s_mul_u64 s[24:25], s[24:25], s[22:23]
	s_wait_alu 0xfffe
	s_mul_hi_u32 s27, s22, s25
	s_mul_i32 s26, s22, s25
	s_mul_hi_u32 s2, s22, s24
	s_mul_i32 s28, s23, s24
	s_wait_alu 0xfffe
	s_add_nc_u64 s[26:27], s[2:3], s[26:27]
	s_mul_hi_u32 s21, s23, s24
	s_mul_hi_u32 s22, s23, s25
	s_wait_alu 0xfffe
	s_add_co_u32 s2, s26, s28
	s_add_co_ci_u32 s2, s27, s21
	s_mul_i32 s24, s23, s25
	s_add_co_ci_u32 s25, s22, 0
	s_wait_alu 0xfffe
	s_add_nc_u64 s[24:25], s[2:3], s[24:25]
	s_wait_alu 0xfffe
	v_add_co_u32 v4, s2, v4, s24
	s_delay_alu instid0(VALU_DEP_1) | instskip(SKIP_1) | instid1(VALU_DEP_1)
	s_cmp_lg_u32 s2, 0
	s_add_co_ci_u32 s2, s23, s25
	v_mul_hi_u32 v13, v5, v4
	s_wait_alu 0xfffe
	v_mad_co_u64_u32 v[7:8], null, v5, s2, 0
	v_mad_co_u64_u32 v[9:10], null, v6, v4, 0
	;; [unrolled: 1-line block ×3, first 2 shown]
	s_delay_alu instid0(VALU_DEP_3) | instskip(SKIP_1) | instid1(VALU_DEP_4)
	v_add_co_u32 v4, vcc_lo, v13, v7
	s_wait_alu 0xfffd
	v_add_co_ci_u32_e32 v7, vcc_lo, 0, v8, vcc_lo
	s_delay_alu instid0(VALU_DEP_2) | instskip(SKIP_1) | instid1(VALU_DEP_2)
	v_add_co_u32 v4, vcc_lo, v4, v9
	s_wait_alu 0xfffd
	v_add_co_ci_u32_e32 v4, vcc_lo, v7, v10, vcc_lo
	s_wait_alu 0xfffd
	v_add_co_ci_u32_e32 v7, vcc_lo, 0, v12, vcc_lo
	s_delay_alu instid0(VALU_DEP_2) | instskip(SKIP_1) | instid1(VALU_DEP_2)
	v_add_co_u32 v4, vcc_lo, v4, v11
	s_wait_alu 0xfffd
	v_add_co_ci_u32_e32 v9, vcc_lo, 0, v7, vcc_lo
	s_delay_alu instid0(VALU_DEP_2) | instskip(SKIP_1) | instid1(VALU_DEP_3)
	v_mul_lo_u32 v10, s19, v4
	v_mad_co_u64_u32 v[7:8], null, s18, v4, 0
	v_mul_lo_u32 v11, s18, v9
	s_delay_alu instid0(VALU_DEP_2) | instskip(NEXT) | instid1(VALU_DEP_2)
	v_sub_co_u32 v7, vcc_lo, v5, v7
	v_add3_u32 v8, v8, v11, v10
	s_delay_alu instid0(VALU_DEP_1) | instskip(SKIP_1) | instid1(VALU_DEP_1)
	v_sub_nc_u32_e32 v10, v6, v8
	s_wait_alu 0xfffd
	v_subrev_co_ci_u32_e64 v10, s2, s19, v10, vcc_lo
	v_add_co_u32 v11, s2, v4, 2
	s_wait_alu 0xf1ff
	v_add_co_ci_u32_e64 v12, s2, 0, v9, s2
	v_sub_co_u32 v13, s2, v7, s18
	v_sub_co_ci_u32_e32 v8, vcc_lo, v6, v8, vcc_lo
	s_wait_alu 0xf1ff
	v_subrev_co_ci_u32_e64 v10, s2, 0, v10, s2
	s_delay_alu instid0(VALU_DEP_3) | instskip(NEXT) | instid1(VALU_DEP_3)
	v_cmp_le_u32_e32 vcc_lo, s18, v13
	v_cmp_eq_u32_e64 s2, s19, v8
	s_wait_alu 0xfffd
	v_cndmask_b32_e64 v13, 0, -1, vcc_lo
	v_cmp_le_u32_e32 vcc_lo, s19, v10
	s_wait_alu 0xfffd
	v_cndmask_b32_e64 v14, 0, -1, vcc_lo
	v_cmp_le_u32_e32 vcc_lo, s18, v7
	;; [unrolled: 3-line block ×3, first 2 shown]
	s_wait_alu 0xfffd
	v_cndmask_b32_e64 v15, 0, -1, vcc_lo
	v_cmp_eq_u32_e32 vcc_lo, s19, v10
	s_wait_alu 0xf1ff
	s_delay_alu instid0(VALU_DEP_2)
	v_cndmask_b32_e64 v7, v15, v7, s2
	s_wait_alu 0xfffd
	v_cndmask_b32_e32 v10, v14, v13, vcc_lo
	v_add_co_u32 v13, vcc_lo, v4, 1
	s_wait_alu 0xfffd
	v_add_co_ci_u32_e32 v14, vcc_lo, 0, v9, vcc_lo
	s_delay_alu instid0(VALU_DEP_3) | instskip(SKIP_2) | instid1(VALU_DEP_3)
	v_cmp_ne_u32_e32 vcc_lo, 0, v10
	s_wait_alu 0xfffd
	v_cndmask_b32_e32 v10, v13, v11, vcc_lo
	v_cndmask_b32_e32 v8, v14, v12, vcc_lo
	v_cmp_ne_u32_e32 vcc_lo, 0, v7
	s_wait_alu 0xfffd
	s_delay_alu instid0(VALU_DEP_2)
	v_dual_cndmask_b32 v7, v4, v10 :: v_dual_cndmask_b32 v8, v9, v8
.LBB0_4:                                ;   in Loop: Header=BB0_2 Depth=1
	s_wait_alu 0xfffe
	s_and_not1_saveexec_b32 s2, s20
	s_cbranch_execz .LBB0_6
; %bb.5:                                ;   in Loop: Header=BB0_2 Depth=1
	v_cvt_f32_u32_e32 v4, s18
	s_sub_co_i32 s20, 0, s18
	s_delay_alu instid0(VALU_DEP_1) | instskip(NEXT) | instid1(TRANS32_DEP_1)
	v_rcp_iflag_f32_e32 v4, v4
	v_mul_f32_e32 v4, 0x4f7ffffe, v4
	s_delay_alu instid0(VALU_DEP_1) | instskip(SKIP_1) | instid1(VALU_DEP_1)
	v_cvt_u32_f32_e32 v4, v4
	s_wait_alu 0xfffe
	v_mul_lo_u32 v7, s20, v4
	s_delay_alu instid0(VALU_DEP_1) | instskip(NEXT) | instid1(VALU_DEP_1)
	v_mul_hi_u32 v7, v4, v7
	v_add_nc_u32_e32 v4, v4, v7
	s_delay_alu instid0(VALU_DEP_1) | instskip(NEXT) | instid1(VALU_DEP_1)
	v_mul_hi_u32 v4, v5, v4
	v_mul_lo_u32 v7, v4, s18
	v_add_nc_u32_e32 v8, 1, v4
	s_delay_alu instid0(VALU_DEP_2) | instskip(NEXT) | instid1(VALU_DEP_1)
	v_sub_nc_u32_e32 v7, v5, v7
	v_subrev_nc_u32_e32 v9, s18, v7
	v_cmp_le_u32_e32 vcc_lo, s18, v7
	s_wait_alu 0xfffd
	s_delay_alu instid0(VALU_DEP_2) | instskip(NEXT) | instid1(VALU_DEP_1)
	v_dual_cndmask_b32 v7, v7, v9 :: v_dual_cndmask_b32 v4, v4, v8
	v_cmp_le_u32_e32 vcc_lo, s18, v7
	s_delay_alu instid0(VALU_DEP_2) | instskip(SKIP_1) | instid1(VALU_DEP_1)
	v_add_nc_u32_e32 v8, 1, v4
	s_wait_alu 0xfffd
	v_dual_cndmask_b32 v7, v4, v8 :: v_dual_mov_b32 v8, v3
.LBB0_6:                                ;   in Loop: Header=BB0_2 Depth=1
	s_wait_alu 0xfffe
	s_or_b32 exec_lo, exec_lo, s2
	s_load_b64 s[20:21], s[12:13], 0x0
	s_delay_alu instid0(VALU_DEP_1)
	v_mul_lo_u32 v4, v8, s18
	v_mul_lo_u32 v11, v7, s19
	v_mad_co_u64_u32 v[9:10], null, v7, s18, 0
	s_add_nc_u64 s[14:15], s[14:15], 1
	s_add_nc_u64 s[12:13], s[12:13], 8
	s_wait_alu 0xfffe
	v_cmp_ge_u64_e64 s2, s[14:15], s[6:7]
	s_add_nc_u64 s[16:17], s[16:17], 8
	s_delay_alu instid0(VALU_DEP_2) | instskip(NEXT) | instid1(VALU_DEP_3)
	v_add3_u32 v4, v10, v11, v4
	v_sub_co_u32 v5, vcc_lo, v5, v9
	s_wait_alu 0xfffd
	s_delay_alu instid0(VALU_DEP_2) | instskip(SKIP_3) | instid1(VALU_DEP_2)
	v_sub_co_ci_u32_e32 v4, vcc_lo, v6, v4, vcc_lo
	s_and_b32 vcc_lo, exec_lo, s2
	s_wait_kmcnt 0x0
	v_mul_lo_u32 v6, s21, v5
	v_mul_lo_u32 v4, s20, v4
	v_mad_co_u64_u32 v[1:2], null, s20, v5, v[1:2]
	s_delay_alu instid0(VALU_DEP_1)
	v_add3_u32 v2, v6, v2, v4
	s_wait_alu 0xfffe
	s_cbranch_vccnz .LBB0_9
; %bb.7:                                ;   in Loop: Header=BB0_2 Depth=1
	v_dual_mov_b32 v5, v7 :: v_dual_mov_b32 v6, v8
	s_branch .LBB0_2
.LBB0_8:
	v_dual_mov_b32 v8, v6 :: v_dual_mov_b32 v7, v5
.LBB0_9:
	s_lshl_b64 s[2:3], s[6:7], 3
	v_mul_hi_u32 v5, 0x4a7904b, v0
	s_wait_alu 0xfffe
	s_add_nc_u64 s[2:3], s[10:11], s[2:3]
                                        ; implicit-def: $vgpr206_vgpr207
                                        ; implicit-def: $vgpr202_vgpr203
                                        ; implicit-def: $vgpr198_vgpr199
                                        ; implicit-def: $vgpr190_vgpr191
                                        ; implicit-def: $vgpr186_vgpr187
                                        ; implicit-def: $vgpr178_vgpr179
                                        ; implicit-def: $vgpr142_vgpr143
                                        ; implicit-def: $vgpr174_vgpr175
                                        ; implicit-def: $vgpr210_vgpr211
                                        ; implicit-def: $vgpr166_vgpr167
                                        ; implicit-def: $vgpr194_vgpr195
                                        ; implicit-def: $vgpr158_vgpr159
                                        ; implicit-def: $vgpr182_vgpr183
                                        ; implicit-def: $vgpr110_vgpr111
                                        ; implicit-def: $vgpr170_vgpr171
                                        ; implicit-def: $vgpr150_vgpr151
                                        ; implicit-def: $vgpr162_vgpr163
                                        ; implicit-def: $vgpr138_vgpr139
                                        ; implicit-def: $vgpr154_vgpr155
                                        ; implicit-def: $vgpr130_vgpr131
                                        ; implicit-def: $vgpr114_vgpr115
                                        ; implicit-def: $vgpr122_vgpr123
                                        ; implicit-def: $vgpr146_vgpr147
                                        ; implicit-def: $vgpr106_vgpr107
                                        ; implicit-def: $vgpr134_vgpr135
                                        ; implicit-def: $vgpr98_vgpr99
                                        ; implicit-def: $vgpr126_vgpr127
                                        ; implicit-def: $vgpr118_vgpr119
                                        ; implicit-def: $vgpr222_vgpr223
                                        ; implicit-def: $vgpr102_vgpr103
                                        ; implicit-def: $vgpr218_vgpr219
                                        ; implicit-def: $vgpr94_vgpr95
                                        ; implicit-def: $vgpr214_vgpr215
	s_load_b64 s[2:3], s[2:3], 0x0
	s_load_b64 s[0:1], s[0:1], 0x20
	s_wait_kmcnt 0x0
	v_mul_lo_u32 v3, s2, v8
	v_mul_lo_u32 v4, s3, v7
	v_mad_co_u64_u32 v[1:2], null, s2, v7, v[1:2]
	v_cmp_gt_u64_e32 vcc_lo, s[0:1], v[7:8]
                                        ; implicit-def: $vgpr6_vgpr7
	s_delay_alu instid0(VALU_DEP_2) | instskip(SKIP_1) | instid1(VALU_DEP_2)
	v_add3_u32 v2, v4, v2, v3
	v_mul_u32_u24_e32 v3, 55, v5
	v_lshlrev_b64_e32 v[1:2], 4, v[1:2]
	s_delay_alu instid0(VALU_DEP_2)
	v_sub_nc_u32_e32 v224, v0, v3
	scratch_store_b64 off, v[1:2], off      ; 8-byte Folded Spill
                                        ; implicit-def: $vgpr2_vgpr3
	s_and_saveexec_b32 s1, vcc_lo
	s_cbranch_execz .LBB0_11
; %bb.10:
	scratch_load_b64 v[2:3], off, off       ; 8-byte Folded Reload
	v_mov_b32_e32 v225, 0
	s_delay_alu instid0(VALU_DEP_1) | instskip(SKIP_4) | instid1(VALU_DEP_2)
	v_lshlrev_b64_e32 v[0:1], 4, v[224:225]
	s_wait_loadcnt 0x0
	v_add_co_u32 v2, s0, s8, v2
	s_wait_alu 0xf1ff
	v_add_co_ci_u32_e64 v3, s0, s9, v3, s0
	v_add_co_u32 v8, s0, v2, v0
	s_wait_alu 0xf1ff
	s_delay_alu instid0(VALU_DEP_2)
	v_add_co_ci_u32_e64 v9, s0, v3, v1, s0
	s_clause 0x1f
	global_load_b128 v[0:3], v[8:9], off
	global_load_b128 v[4:7], v[8:9], off offset:880
	global_load_b128 v[92:95], v[8:9], off offset:8800
	;; [unrolled: 1-line block ×31, first 2 shown]
	s_clause 0x2
	global_load_b128 v[208:211], v[8:9], off offset:24640
	global_load_b128 v[200:203], v[8:9], off offset:25520
	;; [unrolled: 1-line block ×3, first 2 shown]
.LBB0_11:
	s_wait_alu 0xfffe
	s_or_b32 exec_lo, exec_lo, s1
	s_wait_loadcnt 0xc
	v_add_f64_e32 v[8:9], v[116:117], v[212:213]
	s_wait_loadcnt 0x4
	v_add_f64_e32 v[10:11], v[220:221], v[92:93]
	v_add_f64_e32 v[12:13], v[120:121], v[124:125]
	;; [unrolled: 1-line block ×6, first 2 shown]
	s_wait_loadcnt 0x2
	v_add_f64_e32 v[22:23], v[208:209], v[156:157]
	s_wait_loadcnt 0x0
	v_add_f64_e32 v[24:25], v[204:205], v[176:177]
	v_add_f64_e32 v[26:27], v[200:201], v[184:185]
	v_add_f64_e64 v[28:29], v[94:95], -v[222:223]
	v_add_f64_e32 v[30:31], v[100:101], v[216:217]
	v_add_f64_e64 v[32:33], v[102:103], -v[218:219]
	v_add_f64_e64 v[34:35], v[214:215], -v[118:119]
	;; [unrolled: 1-line block ×4, first 2 shown]
	v_add_f64_e32 v[40:41], v[104:105], v[132:133]
	v_add_f64_e64 v[42:43], v[126:127], -v[122:123]
	v_add_f64_e64 v[44:45], v[154:155], -v[150:151]
	v_add_f64_e64 v[46:47], v[162:163], -v[138:139]
	v_add_f64_e32 v[50:51], v[160:161], v[136:137]
	v_add_f64_e64 v[52:53], v[130:131], -v[170:171]
	v_add_f64_e64 v[56:57], v[158:159], -v[210:211]
	v_add_f64_e64 v[58:59], v[166:167], -v[194:195]
	;; [unrolled: 4-line block ×3, first 2 shown]
	v_add_f64_e32 v[72:73], v[196:197], v[188:189]
	v_add_f64_e64 v[76:77], v[178:179], -v[206:207]
	s_mov_b32 s18, 0x37e14327
	s_mov_b32 s20, 0xe976ee23
	;; [unrolled: 1-line block ×9, first 2 shown]
	v_add_f64_e32 v[48:49], v[10:11], v[8:9]
	s_mov_b32 s16, 0xb247c609
	v_add_f64_e32 v[54:55], v[14:15], v[12:13]
	s_mov_b32 s12, 0x5476071b
	;; [unrolled: 2-line block ×5, first 2 shown]
	v_add_f64_e64 v[78:79], v[8:9], -v[30:31]
	v_add_f64_e64 v[80:81], v[32:33], -v[28:29]
	;; [unrolled: 1-line block ×9, first 2 shown]
	v_add_f64_e32 v[28:29], v[32:33], v[28:29]
	v_add_f64_e64 v[229:230], v[50:51], -v[18:19]
	v_add_f64_e64 v[8:9], v[10:11], -v[8:9]
	;; [unrolled: 1-line block ×5, first 2 shown]
	v_add_f64_e32 v[36:37], v[38:39], v[36:37]
	v_add_f64_e64 v[12:13], v[14:15], -v[12:13]
	v_add_f64_e64 v[235:236], v[24:25], -v[72:73]
	;; [unrolled: 1-line block ×3, first 2 shown]
	v_add_f64_e32 v[38:39], v[70:71], v[68:69]
	v_add_f64_e64 v[32:33], v[34:35], -v[32:33]
	v_add_f64_e64 v[20:21], v[22:23], -v[20:21]
	s_mov_b32 s15, 0xbfe77f67
	s_mov_b32 s23, 0xbfd5d0dc
	;; [unrolled: 1-line block ×6, first 2 shown]
	v_add_f64_e32 v[30:31], v[30:31], v[48:49]
	v_add_f64_e64 v[48:49], v[16:17], -v[50:51]
	v_add_f64_e32 v[40:41], v[40:41], v[54:55]
	v_add_f64_e64 v[54:55], v[44:45], -v[52:53]
	;; [unrolled: 2-line block ×3, first 2 shown]
	v_add_f64_e32 v[62:63], v[62:63], v[66:67]
	v_add_f64_e32 v[44:45], v[46:47], v[44:45]
	v_add_f64_e64 v[66:67], v[70:71], -v[68:69]
	v_add_f64_e32 v[56:57], v[58:59], v[56:57]
	v_add_f64_e32 v[74:75], v[72:73], v[74:75]
	v_add_f64_e64 v[72:73], v[72:73], -v[26:27]
	v_add_f64_e64 v[68:69], v[68:69], -v[76:77]
	s_wait_alu 0xfffe
	v_mul_f64_e32 v[78:79], s[18:19], v[78:79]
	v_mul_f64_e32 v[80:81], s[20:21], v[80:81]
	v_add_f64_e64 v[16:17], v[18:19], -v[16:17]
	v_mul_f64_e32 v[18:19], s[2:3], v[82:83]
	v_mul_f64_e32 v[237:238], s[10:11], v[84:85]
	;; [unrolled: 1-line block ×6, first 2 shown]
	v_add_f64_e64 v[46:47], v[52:53], -v[46:47]
	v_mul_f64_e32 v[227:228], s[20:21], v[227:228]
	v_add_f64_e32 v[28:29], v[28:29], v[34:35]
	v_add_f64_e64 v[58:59], v[64:65], -v[58:59]
	v_mul_f64_e32 v[10:11], s[20:21], v[10:11]
	v_add_f64_e32 v[36:37], v[36:37], v[42:43]
	v_add_f64_e64 v[70:71], v[76:77], -v[70:71]
	v_add_f64_e32 v[38:39], v[38:39], v[76:77]
	v_lshl_add_u32 v254, v224, 3, 0
	v_cmp_gt_u32_e64 s0, 10, v224
	v_add_f64_e32 v[241:242], v[0:1], v[30:31]
	v_add_f64_e64 v[0:1], v[26:27], -v[24:25]
	v_add_f64_e32 v[26:27], v[4:5], v[40:41]
	v_mul_f64_e32 v[24:25], s[18:19], v[48:49]
	v_mul_f64_e32 v[4:5], s[10:11], v[54:55]
	;; [unrolled: 1-line block ×3, first 2 shown]
	v_add_f64_e32 v[34:35], v[112:113], v[50:51]
	v_mul_f64_e32 v[112:113], s[18:19], v[231:232]
	v_add_f64_e32 v[243:244], v[108:109], v[62:63]
	v_mul_f64_e32 v[42:43], s[10:11], v[60:61]
	v_mul_f64_e32 v[231:232], s[2:3], v[233:234]
	v_add_f64_e32 v[44:45], v[44:45], v[52:53]
	v_mul_f64_e32 v[52:53], s[20:21], v[66:67]
	v_mul_f64_e32 v[66:67], s[18:19], v[235:236]
	v_add_f64_e32 v[56:57], v[56:57], v[64:65]
	v_add_f64_e32 v[64:65], v[140:141], v[74:75]
	v_mul_f64_e32 v[108:109], s[2:3], v[72:73]
	v_mul_f64_e32 v[76:77], s[10:11], v[68:69]
	v_fma_f64 v[82:83], v[82:83], s[2:3], v[78:79]
	v_fma_f64 v[84:85], v[84:85], s[10:11], -v[80:81]
	v_fma_f64 v[80:81], v[32:33], s[16:17], v[80:81]
	v_fma_f64 v[18:19], v[8:9], s[12:13], -v[18:19]
	v_fma_f64 v[32:33], v[32:33], s[22:23], -v[237:238]
	;; [unrolled: 1-line block ×4, first 2 shown]
	v_fma_f64 v[22:23], v[14:15], s[16:17], v[22:23]
	v_fma_f64 v[14:15], v[14:15], s[22:23], -v[86:87]
	v_fma_f64 v[86:87], v[225:226], s[2:3], v[90:91]
	v_fma_f64 v[88:89], v[12:13], s[12:13], -v[239:240]
	v_fma_f64 v[12:13], v[12:13], s[14:15], -v[90:91]
	v_fma_f64 v[140:141], v[46:47], s[16:17], v[227:228]
	v_fma_f64 v[54:55], v[54:55], s[10:11], -v[227:228]
	v_add_nc_u32_e32 v227, 0x800, v254
	v_add_nc_u32_e32 v225, 0x1800, v254
	;; [unrolled: 1-line block ×6, first 2 shown]
	v_fma_f64 v[30:31], v[30:31], s[6:7], v[241:242]
	v_fma_f64 v[40:41], v[40:41], s[6:7], v[26:27]
	;; [unrolled: 1-line block ×3, first 2 shown]
	v_fma_f64 v[4:5], v[46:47], s[22:23], -v[4:5]
	v_fma_f64 v[46:47], v[16:17], s[12:13], -v[48:49]
	v_fma_f64 v[48:49], v[50:51], s[6:7], v[34:35]
	v_fma_f64 v[16:17], v[16:17], s[14:15], -v[24:25]
	v_fma_f64 v[24:25], v[58:59], s[16:17], v[10:11]
	;; [unrolled: 2-line block ×3, first 2 shown]
	v_fma_f64 v[60:61], v[62:63], s[6:7], v[243:244]
	v_fma_f64 v[42:43], v[58:59], s[22:23], -v[42:43]
	v_fma_f64 v[58:59], v[20:21], s[12:13], -v[231:232]
	;; [unrolled: 1-line block ×3, first 2 shown]
	v_fma_f64 v[62:63], v[70:71], s[16:17], v[52:53]
	v_fma_f64 v[72:73], v[72:73], s[2:3], v[66:67]
	v_fma_f64 v[52:53], v[68:69], s[10:11], -v[52:53]
	v_fma_f64 v[68:69], v[74:75], s[6:7], v[64:65]
	v_fma_f64 v[74:75], v[0:1], s[12:13], -v[108:109]
	v_fma_f64 v[70:71], v[70:71], s[22:23], -v[76:77]
	;; [unrolled: 1-line block ×3, first 2 shown]
	v_fma_f64 v[66:67], v[28:29], s[24:25], v[80:81]
	v_fma_f64 v[76:77], v[28:29], s[24:25], v[84:85]
	;; [unrolled: 1-line block ×6, first 2 shown]
	v_add_nc_u32_e32 v232, 0xc00, v254
	v_add_nc_u32_e32 v113, 0x1000, v254
	v_fma_f64 v[36:37], v[44:45], s[24:25], v[140:141]
	v_fma_f64 v[54:55], v[44:45], s[24:25], v[54:55]
	v_add_nc_u32_e32 v234, 0x400, v254
                                        ; implicit-def: $vgpr230_vgpr231
	v_add_f64_e32 v[78:79], v[82:83], v[30:31]
	v_add_f64_e32 v[8:9], v[8:9], v[30:31]
	;; [unrolled: 1-line block ×6, first 2 shown]
	v_fma_f64 v[4:5], v[44:45], s[24:25], v[4:5]
	v_add_f64_e32 v[44:45], v[90:91], v[48:49]
	v_add_f64_e32 v[46:47], v[46:47], v[48:49]
	;; [unrolled: 1-line block ×3, first 2 shown]
	v_fma_f64 v[24:25], v[56:57], s[24:25], v[24:25]
	v_add_f64_e32 v[48:49], v[50:51], v[60:61]
	v_fma_f64 v[10:11], v[56:57], s[24:25], v[10:11]
	v_fma_f64 v[42:43], v[56:57], s[24:25], v[42:43]
	v_add_f64_e32 v[20:21], v[20:21], v[60:61]
	v_add_f64_e32 v[50:51], v[58:59], v[60:61]
	v_fma_f64 v[56:57], v[38:39], s[24:25], v[62:63]
	v_fma_f64 v[52:53], v[38:39], s[24:25], v[52:53]
	v_add_f64_e32 v[58:59], v[72:73], v[68:69]
	v_add_f64_e32 v[60:61], v[74:75], v[68:69]
	v_fma_f64 v[38:39], v[38:39], s[24:25], v[70:71]
	v_add_f64_e32 v[62:63], v[0:1], v[68:69]
	v_mad_u32_u24 v0, v224, 56, 0
	s_delay_alu instid0(VALU_DEP_1)
	v_add_nc_u32_e32 v140, 0xc08, v0
	v_add_nc_u32_e32 v109, 0xc18, v0
	;; [unrolled: 1-line block ×10, first 2 shown]
	v_add_f64_e32 v[68:69], v[66:67], v[78:79]
	v_add_f64_e32 v[70:71], v[28:29], v[8:9]
	v_add_f64_e64 v[72:73], v[18:19], -v[76:77]
	v_add_f64_e32 v[74:75], v[22:23], v[30:31]
	v_add_f64_e32 v[80:81], v[14:15], v[12:13]
	v_add_f64_e64 v[82:83], v[40:41], -v[32:33]
	v_add_f64_e32 v[32:33], v[32:33], v[40:41]
	v_add_f64_e64 v[12:13], v[12:13], -v[14:15]
	;; [unrolled: 2-line block ×3, first 2 shown]
	v_add_f64_e32 v[46:47], v[54:55], v[46:47]
	v_add_f64_e32 v[54:55], v[4:5], v[16:17]
	v_add_f64_e64 v[84:85], v[16:17], -v[4:5]
	v_add_f64_e32 v[86:87], v[24:25], v[48:49]
	v_add_f64_e32 v[88:89], v[42:43], v[20:21]
	v_add_f64_e64 v[90:91], v[50:51], -v[10:11]
	v_add_f64_e32 v[10:11], v[10:11], v[50:51]
	v_add_f64_e64 v[20:21], v[20:21], -v[42:43]
	;; [unrolled: 2-line block ×3, first 2 shown]
	v_add_f64_e32 v[52:53], v[52:53], v[60:61]
	v_add_f64_e32 v[60:61], v[76:77], v[18:19]
	v_add_f64_e64 v[8:9], v[8:9], -v[28:29]
	v_add_f64_e64 v[28:29], v[78:79], -v[66:67]
	v_add_f64_e32 v[66:67], v[38:39], v[62:63]
	v_add_f64_e64 v[16:17], v[62:63], -v[38:39]
	v_add_f64_e64 v[22:23], v[30:31], -v[22:23]
	;; [unrolled: 1-line block ×5, first 2 shown]
	v_add_nc_u32_e32 v5, 0x3020, v0
	v_add_nc_u32_e32 v4, 0x3030, v0
	ds_store_2addr_b64 v0, v[241:242], v[68:69] offset1:1
	ds_store_2addr_b64 v0, v[70:71], v[72:73] offset0:2 offset1:3
	ds_store_2addr_b64 v140, v[26:27], v[74:75] offset1:1
	ds_store_2addr_b64 v109, v[80:81], v[82:83] offset1:1
	;; [unrolled: 1-line block ×10, first 2 shown]
	ds_store_2addr_b64 v0, v[60:61], v[8:9] offset0:4 offset1:5
	ds_store_b64 v0, v[28:29] offset:48
	ds_store_2addr_b64 v4, v[66:67], v[50:51] offset1:1
	ds_store_2addr_b64 v1, v[52:53], v[16:17] offset1:1
	ds_store_b64 v0, v[22:23] offset:3128
	ds_store_b64 v0, v[30:31] offset:6208
	;; [unrolled: 1-line block ×4, first 2 shown]
	global_wb scope:SCOPE_SE
	s_wait_storecnt_dscnt 0x0
	s_barrier_signal -1
	s_barrier_wait -1
	global_inv scope:SCOPE_SE
	v_add_nc_u32_e32 v241, 0x3000, v254
	ds_load_b64 v[228:229], v254 offset:14880
	ds_load_2addr_b64 v[12:15], v254 offset1:55
	ds_load_2addr_b64 v[8:11], v254 offset0:110 offset1:175
	ds_load_2addr_b64 v[88:91], v227 offset0:94 offset1:149
	;; [unrolled: 1-line block ×13, first 2 shown]
	ds_load_2addr_b64 v[44:47], v226 offset1:55
	ds_load_2addr_b64 v[36:39], v241 offset0:94 offset1:149
                                        ; implicit-def: $vgpr22_vgpr23
                                        ; implicit-def: $vgpr26_vgpr27
                                        ; implicit-def: $vgpr30_vgpr31
                                        ; implicit-def: $vgpr34_vgpr35
	s_and_saveexec_b32 s1, s0
	s_cbranch_execz .LBB0_13
; %bb.12:
	v_add_nc_u32_e32 v20, 0x1a00, v254
	v_add_nc_u32_e32 v21, 0x2400, v254
	ds_load_2addr_b64 v[16:19], v234 offset0:37 offset1:212
	ds_load_2addr_b64 v[32:35], v113 offset0:3 offset1:178
	ds_load_2addr_b64 v[28:31], v20 offset0:33 offset1:208
	ds_load_2addr_b64 v[24:27], v21 offset0:63 offset1:238
	ds_load_2addr_b64 v[20:23], v241 offset0:29 offset1:204
	ds_load_b64 v[230:231], v254 offset:15320
.LBB0_13:
	s_wait_alu 0xfffe
	s_or_b32 exec_lo, exec_lo, s1
	v_add_f64_e32 v[118:119], v[118:119], v[214:215]
	v_add_f64_e32 v[94:95], v[222:223], v[94:95]
	;; [unrolled: 1-line block ×11, first 2 shown]
	v_add_f64_e64 v[92:93], v[92:93], -v[220:221]
	v_add_f64_e64 v[100:101], v[100:101], -v[216:217]
	;; [unrolled: 1-line block ×6, first 2 shown]
	v_add_f64_e32 v[106:107], v[106:107], v[134:135]
	v_add_f64_e64 v[132:133], v[152:153], -v[148:149]
	v_add_f64_e32 v[134:135], v[162:163], v[138:139]
	v_add_f64_e64 v[136:137], v[160:161], -v[136:137]
	v_add_f64_e64 v[128:129], v[128:129], -v[168:169]
	;; [unrolled: 1-line block ×4, first 2 shown]
	v_add_f64_e32 v[156:157], v[166:167], v[194:195]
	v_add_f64_e64 v[160:161], v[180:181], -v[172:173]
	v_add_f64_e64 v[162:163], v[184:185], -v[200:201]
	;; [unrolled: 1-line block ×3, first 2 shown]
	v_add_f64_e32 v[168:169], v[198:199], v[190:191]
	v_add_f64_e64 v[170:171], v[176:177], -v[204:205]
	global_wb scope:SCOPE_SE
	s_wait_dscnt 0x0
	s_barrier_signal -1
	s_barrier_wait -1
	global_inv scope:SCOPE_SE
	v_add_f64_e32 v[124:125], v[94:95], v[118:119]
	v_add_f64_e32 v[138:139], v[98:99], v[122:123]
	;; [unrolled: 1-line block ×5, first 2 shown]
	v_add_f64_e64 v[174:175], v[118:119], -v[102:103]
	v_add_f64_e64 v[176:177], v[102:103], -v[94:95]
	;; [unrolled: 1-line block ×9, first 2 shown]
	v_add_f64_e32 v[92:93], v[100:101], v[92:93]
	v_add_f64_e64 v[190:191], v[136:137], -v[132:133]
	v_add_f64_e64 v[192:193], v[132:133], -v[128:129]
	v_add_f64_e32 v[96:97], v[104:105], v[96:97]
	v_add_f64_e64 v[194:195], v[148:149], -v[144:145]
	v_add_f64_e64 v[100:101], v[116:117], -v[100:101]
	;; [unrolled: 1-line block ×3, first 2 shown]
	v_add_f64_e32 v[132:133], v[136:137], v[132:133]
	v_add_f64_e64 v[198:199], v[164:165], -v[162:163]
	v_add_f64_e32 v[144:145], v[148:149], v[144:145]
	v_add_f64_e64 v[200:201], v[162:163], -v[170:171]
	v_add_f64_e64 v[98:99], v[98:99], -v[122:123]
	;; [unrolled: 1-line block ×3, first 2 shown]
	v_add_f64_e32 v[162:163], v[164:165], v[162:163]
	v_add_f64_e64 v[136:137], v[128:129], -v[136:137]
	v_add_f64_e64 v[148:149], v[160:161], -v[148:149]
	;; [unrolled: 1-line block ×3, first 2 shown]
	v_add_f64_e32 v[102:103], v[102:103], v[124:125]
	v_add_f64_e64 v[124:125], v[126:127], -v[134:135]
	v_add_f64_e32 v[106:107], v[106:107], v[138:139]
	v_add_f64_e64 v[138:139], v[134:135], -v[130:131]
	;; [unrolled: 2-line block ×3, first 2 shown]
	v_add_f64_e64 v[152:153], v[156:157], -v[150:151]
	v_add_f64_e32 v[156:157], v[156:157], v[166:167]
	v_add_f64_e64 v[166:167], v[154:155], -v[168:169]
	v_add_f64_e32 v[172:173], v[168:169], v[172:173]
	v_add_f64_e64 v[168:169], v[168:169], -v[158:159]
	v_mul_f64_e32 v[174:175], s[18:19], v[174:175]
	v_mul_f64_e32 v[122:123], s[20:21], v[178:179]
	v_mul_f64_e32 v[178:179], s[10:11], v[180:181]
	v_mul_f64_e32 v[186:187], s[20:21], v[186:187]
	v_add_f64_e64 v[126:127], v[130:131], -v[126:127]
	v_mul_f64_e32 v[130:131], s[10:11], v[188:189]
	v_mul_f64_e32 v[202:203], s[2:3], v[176:177]
	v_mul_f64_e32 v[182:183], s[18:19], v[182:183]
	v_mul_f64_e32 v[190:191], s[20:21], v[190:191]
	;; [unrolled: 5-line block ×3, first 2 shown]
	v_add_f64_e64 v[154:155], v[158:159], -v[154:155]
	v_mul_f64_e32 v[198:199], s[20:21], v[198:199]
	v_add_f64_e32 v[92:93], v[92:93], v[116:117]
	v_mul_f64_e32 v[116:117], s[10:11], v[200:201]
	v_add_f64_e32 v[96:97], v[96:97], v[120:121]
	v_add_f64_e32 v[128:129], v[132:133], v[128:129]
	;; [unrolled: 1-line block ×5, first 2 shown]
	v_mul_f64_e32 v[124:125], s[18:19], v[124:125]
	v_add_f64_e32 v[6:7], v[6:7], v[106:107]
	v_mul_f64_e32 v[206:207], s[2:3], v[138:139]
	v_add_f64_e32 v[114:115], v[114:115], v[118:119]
	v_mul_f64_e32 v[134:135], s[18:19], v[134:135]
	v_mul_f64_e32 v[208:209], s[2:3], v[152:153]
	v_add_f64_e32 v[110:111], v[110:111], v[156:157]
	v_mul_f64_e32 v[158:159], s[18:19], v[166:167]
	v_add_f64_e32 v[142:143], v[142:143], v[172:173]
	v_mul_f64_e32 v[120:121], s[2:3], v[168:169]
	v_fma_f64 v[160:161], v[176:177], s[2:3], v[174:175]
	v_fma_f64 v[166:167], v[100:101], s[16:17], v[122:123]
	v_fma_f64 v[122:123], v[180:181], s[10:11], -v[122:123]
	v_fma_f64 v[100:101], v[100:101], s[22:23], -v[178:179]
	v_fma_f64 v[176:177], v[104:105], s[16:17], v[186:187]
	v_fma_f64 v[178:179], v[188:189], s[10:11], -v[186:187]
	v_fma_f64 v[104:105], v[104:105], s[22:23], -v[130:131]
	;; [unrolled: 1-line block ×4, first 2 shown]
	v_fma_f64 v[170:171], v[184:185], s[2:3], v[182:183]
	v_fma_f64 v[180:181], v[192:193], s[10:11], -v[190:191]
	v_fma_f64 v[174:175], v[98:99], s[12:13], -v[204:205]
	;; [unrolled: 1-line block ×4, first 2 shown]
	v_fma_f64 v[186:187], v[164:165], s[16:17], v[198:199]
	v_fma_f64 v[116:117], v[164:165], s[22:23], -v[116:117]
	v_fma_f64 v[102:103], v[102:103], s[6:7], v[2:3]
	v_fma_f64 v[130:131], v[138:139], s[2:3], v[124:125]
	;; [unrolled: 1-line block ×3, first 2 shown]
	v_fma_f64 v[136:137], v[136:137], s[22:23], -v[150:151]
	v_fma_f64 v[106:107], v[106:107], s[6:7], v[6:7]
	v_fma_f64 v[118:119], v[118:119], s[6:7], v[114:115]
	v_fma_f64 v[150:151], v[126:127], s[12:13], -v[206:207]
	v_fma_f64 v[124:125], v[126:127], s[14:15], -v[124:125]
	v_fma_f64 v[126:127], v[148:149], s[16:17], v[194:195]
	v_fma_f64 v[152:153], v[152:153], s[2:3], v[134:135]
	;; [unrolled: 1-line block ×3, first 2 shown]
	v_fma_f64 v[184:185], v[146:147], s[12:13], -v[208:209]
	v_fma_f64 v[148:149], v[148:149], s[22:23], -v[210:211]
	;; [unrolled: 1-line block ×3, first 2 shown]
	v_fma_f64 v[146:147], v[168:169], s[2:3], v[158:159]
	v_fma_f64 v[168:169], v[200:201], s[10:11], -v[198:199]
	v_fma_f64 v[164:165], v[172:173], s[6:7], v[142:143]
	v_fma_f64 v[158:159], v[154:155], s[14:15], -v[158:159]
	v_fma_f64 v[120:121], v[154:155], s[12:13], -v[120:121]
	v_fma_f64 v[154:155], v[92:93], s[24:25], v[166:167]
	v_fma_f64 v[122:123], v[92:93], s[24:25], v[122:123]
	;; [unrolled: 1-line block ×7, first 2 shown]
	v_add_f64_e32 v[104:105], v[160:161], v[102:103]
	v_add_f64_e32 v[94:95], v[94:95], v[102:103]
	;; [unrolled: 1-line block ×3, first 2 shown]
	v_fma_f64 v[138:139], v[128:129], s[24:25], v[138:139]
	v_fma_f64 v[160:161], v[128:129], s[24:25], v[180:181]
	;; [unrolled: 1-line block ×3, first 2 shown]
	v_add_f64_e32 v[136:137], v[170:171], v[106:107]
	v_add_f64_e32 v[98:99], v[98:99], v[106:107]
	;; [unrolled: 1-line block ×6, first 2 shown]
	v_fma_f64 v[126:127], v[132:133], s[24:25], v[126:127]
	v_add_f64_e32 v[150:151], v[152:153], v[156:157]
	v_fma_f64 v[162:163], v[132:133], s[24:25], v[182:183]
	v_fma_f64 v[132:133], v[132:133], s[24:25], v[148:149]
	v_add_f64_e32 v[134:135], v[134:135], v[156:157]
	v_add_f64_e32 v[152:153], v[184:185], v[156:157]
	v_fma_f64 v[148:149], v[144:145], s[24:25], v[186:187]
	v_fma_f64 v[156:157], v[144:145], s[24:25], v[168:169]
	v_add_f64_e32 v[144:145], v[146:147], v[164:165]
	v_add_f64_e32 v[146:147], v[158:159], v[164:165]
	;; [unrolled: 1-line block ×3, first 2 shown]
	v_add_f64_e64 v[158:159], v[104:105], -v[154:155]
	v_add_f64_e64 v[164:165], v[94:95], -v[92:93]
	v_add_f64_e32 v[168:169], v[122:123], v[102:103]
	v_add_f64_e64 v[102:103], v[102:103], -v[122:123]
	v_add_f64_e32 v[122:123], v[92:93], v[94:95]
	v_add_f64_e32 v[104:105], v[154:155], v[104:105]
	v_add_f64_e64 v[154:155], v[136:137], -v[100:101]
	v_add_f64_e64 v[170:171], v[98:99], -v[96:97]
	v_add_f64_e32 v[172:173], v[166:167], v[106:107]
	v_add_f64_e64 v[106:107], v[106:107], -v[166:167]
	v_add_f64_e32 v[96:97], v[96:97], v[98:99]
	v_add_f64_e64 v[98:99], v[130:131], -v[138:139]
	v_add_f64_e64 v[166:167], v[124:125], -v[128:129]
	v_add_f64_e32 v[174:175], v[160:161], v[118:119]
	v_add_f64_e64 v[118:119], v[118:119], -v[160:161]
	;; [unrolled: 5-line block ×4, first 2 shown]
	v_add_f64_e32 v[92:93], v[116:117], v[146:147]
	v_add_f64_e32 v[100:101], v[100:101], v[136:137]
	;; [unrolled: 1-line block ×5, first 2 shown]
	ds_store_2addr_b64 v0, v[2:3], v[158:159] offset1:1
	ds_store_2addr_b64 v0, v[164:165], v[168:169] offset0:2 offset1:3
	ds_store_2addr_b64 v0, v[102:103], v[122:123] offset0:4 offset1:5
	ds_store_b64 v0, v[104:105] offset:48
	ds_store_2addr_b64 v140, v[6:7], v[154:155] offset1:1
	ds_store_2addr_b64 v109, v[170:171], v[172:173] offset1:1
	;; [unrolled: 1-line block ×12, first 2 shown]
	ds_store_b64 v0, v[100:101] offset:3128
	ds_store_b64 v0, v[116:117] offset:6208
	;; [unrolled: 1-line block ×4, first 2 shown]
	global_wb scope:SCOPE_SE
	s_wait_dscnt 0x0
	s_barrier_signal -1
	s_barrier_wait -1
	global_inv scope:SCOPE_SE
	ds_load_2addr_b64 v[4:7], v254 offset1:55
	ds_load_2addr_b64 v[0:3], v254 offset0:110 offset1:175
	ds_load_2addr_b64 v[164:167], v227 offset0:94 offset1:149
	;; [unrolled: 1-line block ×13, first 2 shown]
	ds_load_2addr_b64 v[120:123], v226 offset1:55
	ds_load_2addr_b64 v[112:115], v241 offset0:94 offset1:149
	ds_load_b64 v[232:233], v254 offset:14880
                                        ; implicit-def: $vgpr234_vgpr235
                                        ; implicit-def: $vgpr98_vgpr99
                                        ; implicit-def: $vgpr102_vgpr103
                                        ; implicit-def: $vgpr106_vgpr107
                                        ; implicit-def: $vgpr110_vgpr111
	s_and_saveexec_b32 s1, s0
	s_cbranch_execz .LBB0_15
; %bb.14:
	v_add_nc_u32_e32 v92, 0x400, v254
	v_add_nc_u32_e32 v96, 0x1000, v254
	;; [unrolled: 1-line block ×5, first 2 shown]
	ds_load_2addr_b64 v[92:95], v92 offset0:37 offset1:212
	ds_load_2addr_b64 v[108:111], v96 offset0:3 offset1:178
	;; [unrolled: 1-line block ×5, first 2 shown]
	ds_load_b64 v[234:235], v254 offset:15320
.LBB0_15:
	s_wait_alu 0xfffe
	s_or_b32 exec_lo, exec_lo, s1
	v_and_b32_e32 v168, 0xff, v224
	s_mov_b32 s20, 0x8eee2c13
	s_mov_b32 s21, 0xbfed1bb4
	;; [unrolled: 1-line block ×4, first 2 shown]
	v_mul_lo_u16 v168, v168, 37
	s_mov_b32 s14, 0xbb3a28a1
	s_mov_b32 s15, 0xbfe82f19
	;; [unrolled: 1-line block ×4, first 2 shown]
	v_lshrrev_b16 v168, 8, v168
	s_mov_b32 s16, 0x43842ef
	s_mov_b32 s17, 0xbfefac9e
	;; [unrolled: 1-line block ×4, first 2 shown]
	v_sub_nc_u16 v169, v224, v168
	s_mov_b32 s13, 0xbfc2375f
	s_mov_b32 s19, 0xbfd207e7
	;; [unrolled: 1-line block ×3, first 2 shown]
	s_wait_alu 0xfffe
	s_mov_b32 s24, s18
	v_lshrrev_b16 v169, 1, v169
	s_mov_b32 s10, 0x9bcd5057
	s_mov_b32 s11, 0xbfeeb42a
	;; [unrolled: 1-line block ×4, first 2 shown]
	v_and_b32_e32 v169, 0x7f, v169
	s_mov_b32 s29, 0x3fefac9e
	s_mov_b32 s28, s16
	;; [unrolled: 1-line block ×4, first 2 shown]
	v_add_nc_u16 v168, v169, v168
	s_mov_b32 s22, 0x8764f0ba
	s_mov_b32 s23, 0x3feaeb8c
	;; [unrolled: 1-line block ×4, first 2 shown]
	v_lshrrev_b16 v236, 2, v168
	s_delay_alu instid0(VALU_DEP_1) | instskip(NEXT) | instid1(VALU_DEP_1)
	v_mul_lo_u16 v168, v236, 7
	v_sub_nc_u16 v168, v224, v168
	s_delay_alu instid0(VALU_DEP_1) | instskip(NEXT) | instid1(VALU_DEP_1)
	v_and_b32_e32 v237, 0xff, v168
	v_mul_u32_u24_e32 v168, 10, v237
	s_delay_alu instid0(VALU_DEP_1)
	v_lshlrev_b32_e32 v178, 4, v168
	s_clause 0x1
	global_load_b128 v[168:171], v178, s[4:5] offset:16
	global_load_b128 v[241:244], v178, s[4:5]
	s_wait_loadcnt_dscnt 0x10e
	v_mul_f64_e32 v[172:173], v[164:165], v[170:171]
	s_delay_alu instid0(VALU_DEP_1) | instskip(SKIP_1) | instid1(VALU_DEP_1)
	v_fma_f64 v[202:203], v[88:89], v[168:169], -v[172:173]
	v_mul_f64_e32 v[88:89], v[88:89], v[170:171]
	v_fma_f64 v[225:226], v[164:165], v[168:169], v[88:89]
	v_add_nc_u32_e32 v164, 55, v224
	s_delay_alu instid0(VALU_DEP_1) | instskip(NEXT) | instid1(VALU_DEP_1)
	v_and_b32_e32 v88, 0xff, v164
	v_mul_lo_u16 v88, v88, 37
	s_delay_alu instid0(VALU_DEP_1) | instskip(NEXT) | instid1(VALU_DEP_1)
	v_lshrrev_b16 v88, 8, v88
	v_sub_nc_u16 v89, v164, v88
	s_delay_alu instid0(VALU_DEP_1) | instskip(NEXT) | instid1(VALU_DEP_1)
	v_lshrrev_b16 v89, 1, v89
	v_and_b32_e32 v89, 0x7f, v89
	s_delay_alu instid0(VALU_DEP_1) | instskip(NEXT) | instid1(VALU_DEP_1)
	v_add_nc_u16 v88, v89, v88
	v_lshrrev_b16 v239, 2, v88
	s_delay_alu instid0(VALU_DEP_1) | instskip(NEXT) | instid1(VALU_DEP_1)
	v_mul_lo_u16 v88, v239, 7
	v_sub_nc_u16 v88, v164, v88
	s_delay_alu instid0(VALU_DEP_1) | instskip(NEXT) | instid1(VALU_DEP_1)
	v_and_b32_e32 v240, 0xff, v88
	v_mul_u32_u24_e32 v88, 10, v240
	s_delay_alu instid0(VALU_DEP_1)
	v_lshlrev_b32_e32 v164, 4, v88
	s_clause 0x1
	global_load_b128 v[172:175], v164, s[4:5] offset:16
	global_load_b128 v[179:182], v164, s[4:5]
	s_wait_loadcnt 0x1
	v_mul_f64_e32 v[88:89], v[166:167], v[174:175]
	s_delay_alu instid0(VALU_DEP_1) | instskip(SKIP_2) | instid1(VALU_DEP_2)
	v_fma_f64 v[170:171], v[90:91], v[172:173], -v[88:89]
	v_mul_f64_e32 v[88:89], v[90:91], v[174:175]
	v_add_nc_u32_e32 v255, 0xa5, v224
	v_fma_f64 v[168:169], v[166:167], v[172:173], v[88:89]
	s_clause 0x1
	global_load_b128 v[88:91], v178, s[4:5] offset:48
	global_load_b128 v[183:186], v178, s[4:5] offset:32
	s_wait_loadcnt_dscnt 0x10c
	v_mul_f64_e32 v[166:167], v[160:161], v[90:91]
	s_delay_alu instid0(VALU_DEP_1) | instskip(SKIP_1) | instid1(VALU_DEP_1)
	v_fma_f64 v[204:205], v[84:85], v[88:89], -v[166:167]
	v_mul_f64_e32 v[84:85], v[84:85], v[90:91]
	v_fma_f64 v[172:173], v[160:161], v[88:89], v[84:85]
	s_clause 0x1
	global_load_b128 v[88:91], v164, s[4:5] offset:48
	global_load_b128 v[190:193], v164, s[4:5] offset:32
	s_wait_loadcnt 0x1
	v_mul_f64_e32 v[84:85], v[162:163], v[90:91]
	s_delay_alu instid0(VALU_DEP_1) | instskip(SKIP_1) | instid1(VALU_DEP_1)
	v_fma_f64 v[165:166], v[86:87], v[88:89], -v[84:85]
	v_mul_f64_e32 v[84:85], v[86:87], v[90:91]
	v_fma_f64 v[160:161], v[162:163], v[88:89], v[84:85]
	s_clause 0x1
	global_load_b128 v[84:87], v178, s[4:5] offset:80
	global_load_b128 v[88:91], v178, s[4:5] offset:64
	s_wait_loadcnt_dscnt 0x10a
	v_mul_f64_e32 v[162:163], v[156:157], v[86:87]
	s_delay_alu instid0(VALU_DEP_1) | instskip(SKIP_1) | instid1(VALU_DEP_1)
	v_fma_f64 v[206:207], v[80:81], v[84:85], -v[162:163]
	v_mul_f64_e32 v[80:81], v[80:81], v[86:87]
	v_fma_f64 v[174:175], v[156:157], v[84:85], v[80:81]
	s_clause 0x1
	global_load_b128 v[84:87], v164, s[4:5] offset:80
	global_load_b128 v[196:199], v164, s[4:5] offset:64
	s_wait_loadcnt 0x1
	v_mul_f64_e32 v[80:81], v[158:159], v[86:87]
	s_delay_alu instid0(VALU_DEP_1) | instskip(SKIP_1) | instid1(VALU_DEP_1)
	v_fma_f64 v[162:163], v[82:83], v[84:85], -v[80:81]
	v_mul_f64_e32 v[80:81], v[82:83], v[86:87]
	v_fma_f64 v[156:157], v[158:159], v[84:85], v[80:81]
	s_clause 0x1
	global_load_b128 v[80:83], v178, s[4:5] offset:112
	global_load_b128 v[84:87], v178, s[4:5] offset:96
	s_wait_loadcnt_dscnt 0x108
	v_mul_f64_e32 v[158:159], v[152:153], v[82:83]
	s_delay_alu instid0(VALU_DEP_1) | instskip(SKIP_1) | instid1(VALU_DEP_1)
	v_fma_f64 v[208:209], v[76:77], v[80:81], -v[158:159]
	v_mul_f64_e32 v[76:77], v[76:77], v[82:83]
	v_fma_f64 v[176:177], v[152:153], v[80:81], v[76:77]
	s_clause 0x1
	global_load_b128 v[80:83], v164, s[4:5] offset:112
	global_load_b128 v[245:248], v164, s[4:5] offset:96
	s_wait_loadcnt 0x1
	v_mul_f64_e32 v[76:77], v[154:155], v[82:83]
	s_delay_alu instid0(VALU_DEP_1) | instskip(SKIP_1) | instid1(VALU_DEP_1)
	v_fma_f64 v[158:159], v[78:79], v[80:81], -v[76:77]
	v_mul_f64_e32 v[76:77], v[78:79], v[82:83]
	v_fma_f64 v[152:153], v[154:155], v[80:81], v[76:77]
	s_clause 0x1
	global_load_b128 v[76:79], v178, s[4:5] offset:144
	global_load_b128 v[80:83], v178, s[4:5] offset:128
	s_wait_loadcnt_dscnt 0x106
	v_mul_f64_e32 v[154:155], v[148:149], v[78:79]
	s_delay_alu instid0(VALU_DEP_1) | instskip(SKIP_1) | instid1(VALU_DEP_1)
	v_fma_f64 v[222:223], v[72:73], v[76:77], -v[154:155]
	v_mul_f64_e32 v[72:73], v[72:73], v[78:79]
	v_fma_f64 v[154:155], v[148:149], v[76:77], v[72:73]
	s_clause 0x1
	global_load_b128 v[76:79], v164, s[4:5] offset:144
	global_load_b128 v[249:252], v164, s[4:5] offset:128
	s_wait_loadcnt 0x1
	v_mul_f64_e32 v[72:73], v[150:151], v[78:79]
	s_delay_alu instid0(VALU_DEP_1) | instskip(SKIP_1) | instid1(VALU_DEP_1)
	v_fma_f64 v[218:219], v[74:75], v[76:77], -v[72:73]
	v_mul_f64_e32 v[72:73], v[74:75], v[78:79]
	v_fma_f64 v[148:149], v[150:151], v[76:77], v[72:73]
	s_wait_dscnt 0x5
	v_mul_f64_e32 v[72:73], v[144:145], v[181:182]
	s_delay_alu instid0(VALU_DEP_1) | instskip(SKIP_2) | instid1(VALU_DEP_2)
	v_fma_f64 v[220:221], v[68:69], v[179:180], -v[72:73]
	v_mul_f64_e32 v[68:69], v[68:69], v[181:182]
	v_add_nc_u32_e32 v72, 0x6e, v224
	v_fma_f64 v[216:217], v[144:145], v[179:180], v[68:69]
	s_delay_alu instid0(VALU_DEP_2) | instskip(SKIP_2) | instid1(VALU_DEP_1)
	v_and_b32_e32 v68, 0xff, v72
	scratch_store_b32 off, v68, off offset:16 ; 4-byte Folded Spill
	v_mul_lo_u16 v68, v68, 37
	v_lshrrev_b16 v68, 8, v68
	s_delay_alu instid0(VALU_DEP_1) | instskip(NEXT) | instid1(VALU_DEP_1)
	v_sub_nc_u16 v69, v72, v68
	v_lshrrev_b16 v69, 1, v69
	s_delay_alu instid0(VALU_DEP_1) | instskip(NEXT) | instid1(VALU_DEP_1)
	v_and_b32_e32 v69, 0x7f, v69
	v_add_nc_u16 v68, v69, v68
	s_delay_alu instid0(VALU_DEP_1) | instskip(NEXT) | instid1(VALU_DEP_1)
	v_lshrrev_b16 v238, 2, v68
	v_mul_lo_u16 v68, v238, 7
	s_delay_alu instid0(VALU_DEP_1) | instskip(NEXT) | instid1(VALU_DEP_1)
	v_sub_nc_u16 v68, v72, v68
	v_and_b32_e32 v227, 0xff, v68
	s_delay_alu instid0(VALU_DEP_1) | instskip(NEXT) | instid1(VALU_DEP_1)
	v_mul_u32_u24_e32 v68, 10, v227
	v_lshlrev_b32_e32 v144, 4, v68
	s_clause 0x1
	global_load_b128 v[72:75], v144, s[4:5]
	global_load_b128 v[76:79], v144, s[4:5] offset:16
	s_wait_loadcnt 0x1
	v_mul_f64_e32 v[68:69], v[146:147], v[74:75]
	s_delay_alu instid0(VALU_DEP_1) | instskip(SKIP_1) | instid1(VALU_DEP_1)
	v_fma_f64 v[214:215], v[70:71], v[72:73], -v[68:69]
	v_mul_f64_e32 v[68:69], v[70:71], v[74:75]
	v_fma_f64 v[212:213], v[146:147], v[72:73], v[68:69]
	v_mul_f64_e32 v[68:69], v[142:143], v[185:186]
	s_delay_alu instid0(VALU_DEP_1) | instskip(SKIP_1) | instid1(VALU_DEP_1)
	v_fma_f64 v[210:211], v[66:67], v[183:184], -v[68:69]
	v_mul_f64_e32 v[66:67], v[66:67], v[185:186]
	v_fma_f64 v[182:183], v[142:143], v[183:184], v[66:67]
	s_wait_loadcnt 0x0
	v_mul_f64_e32 v[66:67], v[140:141], v[78:79]
	v_dual_mov_b32 v185, v177 :: v_dual_mov_b32 v184, v176
	s_delay_alu instid0(VALU_DEP_2) | instskip(SKIP_1) | instid1(VALU_DEP_1)
	v_fma_f64 v[142:143], v[64:65], v[76:77], -v[66:67]
	v_mul_f64_e32 v[64:65], v[64:65], v[78:79]
	v_fma_f64 v[74:75], v[140:141], v[76:77], v[64:65]
	s_wait_dscnt 0x4
	v_mul_f64_e32 v[64:65], v[136:137], v[192:193]
	s_delay_alu instid0(VALU_DEP_1) | instskip(SKIP_4) | instid1(VALU_DEP_1)
	v_fma_f64 v[140:141], v[60:61], v[190:191], -v[64:65]
	s_clause 0x1
	global_load_b128 v[64:67], v144, s[4:5] offset:32
	global_load_b128 v[68:71], v144, s[4:5] offset:48
	v_mul_f64_e32 v[60:61], v[60:61], v[192:193]
	v_fma_f64 v[136:137], v[136:137], v[190:191], v[60:61]
	s_wait_loadcnt 0x1
	v_mul_f64_e32 v[60:61], v[138:139], v[66:67]
	s_delay_alu instid0(VALU_DEP_1) | instskip(SKIP_1) | instid1(VALU_DEP_1)
	v_fma_f64 v[78:79], v[62:63], v[64:65], -v[60:61]
	v_mul_f64_e32 v[60:61], v[62:63], v[66:67]
	v_fma_f64 v[76:77], v[138:139], v[64:65], v[60:61]
	v_mul_f64_e32 v[60:61], v[134:135], v[90:91]
	s_delay_alu instid0(VALU_DEP_1) | instskip(SKIP_1) | instid1(VALU_DEP_1)
	v_fma_f64 v[60:61], v[58:59], v[88:89], -v[60:61]
	v_mul_f64_e32 v[58:59], v[58:59], v[90:91]
	v_fma_f64 v[194:195], v[134:135], v[88:89], v[58:59]
	s_wait_loadcnt 0x0
	v_mul_f64_e32 v[58:59], v[132:133], v[70:71]
	s_delay_alu instid0(VALU_DEP_1) | instskip(SKIP_1) | instid1(VALU_DEP_1)
	v_fma_f64 v[134:135], v[56:57], v[68:69], -v[58:59]
	v_mul_f64_e32 v[56:57], v[56:57], v[70:71]
	v_fma_f64 v[90:91], v[132:133], v[68:69], v[56:57]
	s_wait_dscnt 0x3
	v_mul_f64_e32 v[56:57], v[128:129], v[198:199]
	s_delay_alu instid0(VALU_DEP_1) | instskip(SKIP_1) | instid1(VALU_DEP_2)
	v_fma_f64 v[145:146], v[52:53], v[196:197], -v[56:57]
	v_mul_f64_e32 v[52:53], v[52:53], v[198:199]
	v_mov_b32_e32 v189, v146
	s_clause 0x1
	global_load_b128 v[56:59], v144, s[4:5] offset:64
	global_load_b128 v[62:65], v144, s[4:5] offset:80
	v_fma_f64 v[138:139], v[128:129], v[196:197], v[52:53]
	v_mov_b32_e32 v188, v145
	s_wait_loadcnt 0x1
	v_mul_f64_e32 v[52:53], v[130:131], v[58:59]
	s_delay_alu instid0(VALU_DEP_1) | instskip(SKIP_1) | instid1(VALU_DEP_1)
	v_fma_f64 v[128:129], v[54:55], v[56:57], -v[52:53]
	v_mul_f64_e32 v[52:53], v[54:55], v[58:59]
	v_fma_f64 v[88:89], v[130:131], v[56:57], v[52:53]
	v_mul_f64_e32 v[52:53], v[126:127], v[86:87]
	v_dual_mov_b32 v130, v174 :: v_dual_mov_b32 v131, v175
	s_delay_alu instid0(VALU_DEP_2) | instskip(SKIP_1) | instid1(VALU_DEP_1)
	v_fma_f64 v[52:53], v[50:51], v[84:85], -v[52:53]
	v_mul_f64_e32 v[50:51], v[50:51], v[86:87]
	v_fma_f64 v[196:197], v[126:127], v[84:85], v[50:51]
	s_wait_loadcnt 0x0
	v_mul_f64_e32 v[50:51], v[124:125], v[64:65]
	v_dual_mov_b32 v126, v172 :: v_dual_mov_b32 v127, v173
	s_delay_alu instid0(VALU_DEP_2) | instskip(SKIP_1) | instid1(VALU_DEP_1)
	v_fma_f64 v[86:87], v[48:49], v[62:63], -v[50:51]
	v_mul_f64_e32 v[48:49], v[48:49], v[64:65]
	v_fma_f64 v[84:85], v[124:125], v[62:63], v[48:49]
	s_wait_dscnt 0x2
	v_mul_f64_e32 v[48:49], v[120:121], v[247:248]
	s_delay_alu instid0(VALU_DEP_1) | instskip(SKIP_4) | instid1(VALU_DEP_1)
	v_fma_f64 v[192:193], v[44:45], v[245:246], -v[48:49]
	s_clause 0x1
	global_load_b128 v[48:51], v144, s[4:5] offset:96
	global_load_b128 v[54:57], v144, s[4:5] offset:112
	v_mul_f64_e32 v[44:45], v[44:45], v[247:248]
	v_fma_f64 v[150:151], v[120:121], v[245:246], v[44:45]
	s_wait_loadcnt 0x1
	v_mul_f64_e32 v[44:45], v[122:123], v[50:51]
	s_delay_alu instid0(VALU_DEP_1) | instskip(SKIP_1) | instid1(VALU_DEP_1)
	v_fma_f64 v[124:125], v[46:47], v[48:49], -v[44:45]
	v_mul_f64_e32 v[44:45], v[46:47], v[50:51]
	v_fma_f64 v[120:121], v[122:123], v[48:49], v[44:45]
	v_mul_f64_e32 v[44:45], v[118:119], v[82:83]
	v_dual_mov_b32 v122, v162 :: v_dual_mov_b32 v123, v163
	s_delay_alu instid0(VALU_DEP_2) | instskip(SKIP_1) | instid1(VALU_DEP_1)
	v_fma_f64 v[44:45], v[42:43], v[80:81], -v[44:45]
	v_mul_f64_e32 v[42:43], v[42:43], v[82:83]
	v_fma_f64 v[200:201], v[118:119], v[80:81], v[42:43]
	s_wait_loadcnt 0x0
	v_mul_f64_e32 v[42:43], v[116:117], v[56:57]
	s_delay_alu instid0(VALU_DEP_1) | instskip(SKIP_1) | instid1(VALU_DEP_1)
	v_fma_f64 v[118:119], v[40:41], v[54:55], -v[42:43]
	v_mul_f64_e32 v[40:41], v[40:41], v[56:57]
	v_fma_f64 v[80:81], v[116:117], v[54:55], v[40:41]
	s_wait_dscnt 0x1
	v_mul_f64_e32 v[40:41], v[112:113], v[251:252]
	s_delay_alu instid0(VALU_DEP_1) | instskip(SKIP_4) | instid1(VALU_DEP_1)
	v_fma_f64 v[198:199], v[36:37], v[249:250], -v[40:41]
	s_clause 0x1
	global_load_b128 v[40:43], v144, s[4:5] offset:128
	global_load_b128 v[46:49], v144, s[4:5] offset:144
	v_mul_f64_e32 v[36:37], v[36:37], v[251:252]
	v_fma_f64 v[116:117], v[112:113], v[249:250], v[36:37]
	s_wait_loadcnt 0x1
	v_mul_f64_e32 v[36:37], v[114:115], v[42:43]
	s_delay_alu instid0(VALU_DEP_1) | instskip(SKIP_1) | instid1(VALU_DEP_2)
	v_fma_f64 v[112:113], v[38:39], v[40:41], -v[36:37]
	v_mul_f64_e32 v[36:37], v[38:39], v[42:43]
	v_mov_b32_e32 v181, v113
	s_delay_alu instid0(VALU_DEP_2) | instskip(SKIP_2) | instid1(VALU_DEP_2)
	v_fma_f64 v[82:83], v[114:115], v[40:41], v[36:37]
	v_and_b32_e32 v36, 0xff, v255
	v_mov_b32_e32 v180, v112
	v_mul_lo_u16 v36, v36, 37
	s_delay_alu instid0(VALU_DEP_1) | instskip(NEXT) | instid1(VALU_DEP_1)
	v_lshrrev_b16 v36, 8, v36
	v_sub_nc_u16 v37, v255, v36
	s_delay_alu instid0(VALU_DEP_1) | instskip(NEXT) | instid1(VALU_DEP_1)
	v_lshrrev_b16 v37, 1, v37
	v_and_b32_e32 v37, 0x7f, v37
	s_delay_alu instid0(VALU_DEP_1) | instskip(NEXT) | instid1(VALU_DEP_1)
	v_add_nc_u16 v36, v37, v36
	v_lshrrev_b16 v68, 2, v36
	s_delay_alu instid0(VALU_DEP_1) | instskip(NEXT) | instid1(VALU_DEP_1)
	v_mul_lo_u16 v36, v68, 7
	v_sub_nc_u16 v36, v255, v36
	s_delay_alu instid0(VALU_DEP_1) | instskip(NEXT) | instid1(VALU_DEP_1)
	v_and_b32_e32 v69, 0xff, v36
	v_mul_u32_u24_e32 v36, 10, v69
	s_delay_alu instid0(VALU_DEP_1)
	v_lshlrev_b32_e32 v54, 4, v36
	s_clause 0x1
	global_load_b128 v[36:39], v54, s[4:5]
	global_load_b128 v[40:43], v54, s[4:5] offset:16
	s_wait_loadcnt 0x1
	v_mul_f64_e32 v[50:51], v[94:95], v[38:39]
	s_delay_alu instid0(VALU_DEP_1) | instskip(SKIP_1) | instid1(VALU_DEP_1)
	v_fma_f64 v[50:51], v[18:19], v[36:37], -v[50:51]
	v_mul_f64_e32 v[18:19], v[18:19], v[38:39]
	v_fma_f64 v[18:19], v[94:95], v[36:37], v[18:19]
	scratch_store_b64 off, v[18:19], off offset:168 ; 8-byte Folded Spill
	s_wait_loadcnt 0x0
	v_mul_f64_e32 v[18:19], v[108:109], v[42:43]
	s_delay_alu instid0(VALU_DEP_1) | instskip(SKIP_2) | instid1(VALU_DEP_1)
	v_fma_f64 v[18:19], v[32:33], v[40:41], -v[18:19]
	scratch_store_b64 off, v[18:19], off offset:144 ; 8-byte Folded Spill
	v_mul_f64_e32 v[18:19], v[32:33], v[42:43]
	v_fma_f64 v[18:19], v[108:109], v[40:41], v[18:19]
	s_clause 0x1
	scratch_store_b64 off, v[50:51], off offset:160
	scratch_store_b64 off, v[18:19], off offset:120
	s_clause 0x1
	global_load_b128 v[36:39], v54, s[4:5] offset:32
	global_load_b128 v[40:43], v54, s[4:5] offset:48
	s_wait_loadcnt 0x1
	v_mul_f64_e32 v[18:19], v[110:111], v[38:39]
	s_delay_alu instid0(VALU_DEP_1) | instskip(SKIP_2) | instid1(VALU_DEP_1)
	v_fma_f64 v[18:19], v[34:35], v[36:37], -v[18:19]
	scratch_store_b64 off, v[18:19], off offset:128 ; 8-byte Folded Spill
	v_mul_f64_e32 v[18:19], v[34:35], v[38:39]
	v_fma_f64 v[18:19], v[110:111], v[36:37], v[18:19]
	scratch_store_b64 off, v[18:19], off offset:112 ; 8-byte Folded Spill
	s_wait_loadcnt 0x0
	v_mul_f64_e32 v[18:19], v[104:105], v[42:43]
	s_delay_alu instid0(VALU_DEP_1) | instskip(SKIP_2) | instid1(VALU_DEP_1)
	v_fma_f64 v[18:19], v[28:29], v[40:41], -v[18:19]
	scratch_store_b64 off, v[18:19], off offset:96 ; 8-byte Folded Spill
	v_mul_f64_e32 v[18:19], v[28:29], v[42:43]
	v_fma_f64 v[18:19], v[104:105], v[40:41], v[18:19]
	scratch_store_b64 off, v[18:19], off offset:88 ; 8-byte Folded Spill
	s_clause 0x1
	global_load_b128 v[32:35], v54, s[4:5] offset:64
	global_load_b128 v[36:39], v54, s[4:5] offset:80
	s_wait_loadcnt 0x1
	v_mul_f64_e32 v[18:19], v[106:107], v[34:35]
	s_delay_alu instid0(VALU_DEP_1) | instskip(SKIP_2) | instid1(VALU_DEP_1)
	v_fma_f64 v[18:19], v[30:31], v[32:33], -v[18:19]
	scratch_store_b64 off, v[18:19], off offset:72 ; 8-byte Folded Spill
	v_mul_f64_e32 v[18:19], v[30:31], v[34:35]
	v_fma_f64 v[18:19], v[106:107], v[32:33], v[18:19]
	scratch_store_b64 off, v[18:19], off offset:48 ; 8-byte Folded Spill
	s_wait_loadcnt 0x0
	v_mul_f64_e32 v[18:19], v[100:101], v[38:39]
	s_delay_alu instid0(VALU_DEP_1) | instskip(SKIP_2) | instid1(VALU_DEP_1)
	v_fma_f64 v[18:19], v[24:25], v[36:37], -v[18:19]
	scratch_store_b64 off, v[18:19], off offset:80 ; 8-byte Folded Spill
	v_mul_f64_e32 v[18:19], v[24:25], v[38:39]
	v_fma_f64 v[18:19], v[100:101], v[36:37], v[18:19]
	scratch_store_b64 off, v[18:19], off offset:56 ; 8-byte Folded Spill
	s_clause 0x1
	global_load_b128 v[28:31], v54, s[4:5] offset:96
	global_load_b128 v[32:35], v54, s[4:5] offset:112
	s_wait_loadcnt 0x1
	v_mul_f64_e32 v[18:19], v[102:103], v[30:31]
	s_delay_alu instid0(VALU_DEP_1) | instskip(SKIP_2) | instid1(VALU_DEP_1)
	v_fma_f64 v[18:19], v[26:27], v[28:29], -v[18:19]
	scratch_store_b64 off, v[18:19], off offset:104 ; 8-byte Folded Spill
	v_mul_f64_e32 v[18:19], v[26:27], v[30:31]
	v_fma_f64 v[18:19], v[102:103], v[28:29], v[18:19]
	v_dual_mov_b32 v102, v165 :: v_dual_mov_b32 v103, v166
	scratch_store_b64 off, v[18:19], off offset:64 ; 8-byte Folded Spill
	s_wait_loadcnt 0x0
	v_mul_f64_e32 v[18:19], v[96:97], v[34:35]
	s_delay_alu instid0(VALU_DEP_1) | instskip(SKIP_2) | instid1(VALU_DEP_1)
	v_fma_f64 v[18:19], v[20:21], v[32:33], -v[18:19]
	scratch_store_b64 off, v[18:19], off offset:136 ; 8-byte Folded Spill
	v_mul_f64_e32 v[18:19], v[20:21], v[34:35]
	v_fma_f64 v[18:19], v[96:97], v[32:33], v[18:19]
	v_dual_mov_b32 v96, v148 :: v_dual_mov_b32 v97, v149
	scratch_store_b64 off, v[18:19], off offset:40 ; 8-byte Folded Spill
	s_clause 0x1
	global_load_b128 v[18:21], v54, s[4:5] offset:128
	global_load_b128 v[24:27], v54, s[4:5] offset:144
	s_wait_loadcnt 0x1
	v_mul_f64_e32 v[28:29], v[98:99], v[20:21]
	v_mul_f64_e32 v[20:21], v[22:23], v[20:21]
	s_delay_alu instid0(VALU_DEP_2) | instskip(NEXT) | instid1(VALU_DEP_2)
	v_fma_f64 v[28:29], v[22:23], v[18:19], -v[28:29]
	v_fma_f64 v[18:19], v[98:99], v[18:19], v[20:21]
	v_mul_f64_e32 v[20:21], v[228:229], v[48:49]
	v_dual_mov_b32 v98, v154 :: v_dual_mov_b32 v99, v155
	s_wait_dscnt 0x0
	s_delay_alu instid0(VALU_DEP_2) | instskip(SKIP_2) | instid1(VALU_DEP_1)
	v_fma_f64 v[186:187], v[232:233], v[46:47], v[20:21]
	s_wait_loadcnt 0x0
	v_mul_f64_e32 v[20:21], v[234:235], v[26:27]
	v_fma_f64 v[20:21], v[230:231], v[24:25], -v[20:21]
	scratch_store_b64 off, v[20:21], off offset:176 ; 8-byte Folded Spill
	v_mul_f64_e32 v[20:21], v[230:231], v[26:27]
	v_add_f64_e64 v[26:27], v[225:226], -v[200:201]
	s_delay_alu instid0(VALU_DEP_2)
	v_fma_f64 v[20:21], v[234:235], v[24:25], v[20:21]
	s_clause 0x1
	scratch_store_b64 off, v[28:29], off offset:152
	scratch_store_b64 off, v[18:19], off offset:32
	v_mul_f64_e32 v[32:33], s[14:15], v[26:27]
	s_wait_alu 0xfffe
	v_mul_f64_e32 v[38:39], s[24:25], v[26:27]
	v_mul_f64_e32 v[18:19], v[232:233], v[48:49]
	scratch_store_b64 off, v[20:21], off offset:24 ; 8-byte Folded Spill
	v_mul_f64_e32 v[20:21], v[10:11], v[243:244]
	global_wb scope:SCOPE_SE
	s_wait_storecnt 0x0
	s_barrier_signal -1
	s_barrier_wait -1
	v_fma_f64 v[18:19], v[228:229], v[46:47], -v[18:19]
	global_inv scope:SCOPE_SE
	v_mul_f64_e32 v[228:229], s[34:35], v[26:27]
	v_fma_f64 v[20:21], v[2:3], v[241:242], v[20:21]
	v_mul_f64_e32 v[2:3], v[2:3], v[243:244]
	s_delay_alu instid0(VALU_DEP_2) | instskip(NEXT) | instid1(VALU_DEP_2)
	v_add_f64_e64 v[24:25], v[20:21], -v[154:155]
	v_fma_f64 v[2:3], v[10:11], v[241:242], -v[2:3]
	v_dual_mov_b32 v155, v125 :: v_dual_mov_b32 v154, v124
	s_delay_alu instid0(VALU_DEP_3) | instskip(NEXT) | instid1(VALU_DEP_3)
	v_mul_f64_e32 v[28:29], s[20:21], v[24:25]
	v_add_f64_e32 v[10:11], v[2:3], v[222:223]
	s_delay_alu instid0(VALU_DEP_1) | instskip(SKIP_1) | instid1(VALU_DEP_2)
	v_fma_f64 v[22:23], v[10:11], s[2:3], -v[28:29]
	v_fma_f64 v[28:29], v[10:11], s[2:3], v[28:29]
	v_add_f64_e32 v[30:31], v[12:13], v[22:23]
	v_add_f64_e32 v[22:23], v[202:203], v[44:45]
	s_delay_alu instid0(VALU_DEP_3) | instskip(NEXT) | instid1(VALU_DEP_2)
	v_add_f64_e32 v[28:29], v[12:13], v[28:29]
	v_fma_f64 v[34:35], v[22:23], s[6:7], -v[32:33]
	v_fma_f64 v[36:37], v[22:23], s[10:11], -v[38:39]
	v_fma_f64 v[32:33], v[22:23], s[6:7], v[32:33]
	v_fma_f64 v[230:231], v[22:23], s[22:23], -v[228:229]
	s_delay_alu instid0(VALU_DEP_4) | instskip(SKIP_1) | instid1(VALU_DEP_4)
	v_add_f64_e32 v[40:41], v[34:35], v[30:31]
	v_mul_f64_e32 v[34:35], s[16:17], v[24:25]
	v_add_f64_e32 v[28:29], v[32:33], v[28:29]
	s_delay_alu instid0(VALU_DEP_2) | instskip(SKIP_2) | instid1(VALU_DEP_3)
	v_fma_f64 v[30:31], v[10:11], s[12:13], -v[34:35]
	v_fma_f64 v[32:33], v[10:11], s[12:13], v[34:35]
	v_fma_f64 v[34:35], v[22:23], s[10:11], v[38:39]
	v_add_f64_e32 v[30:31], v[12:13], v[30:31]
	s_delay_alu instid0(VALU_DEP_3) | instskip(NEXT) | instid1(VALU_DEP_2)
	v_add_f64_e32 v[32:33], v[12:13], v[32:33]
	v_add_f64_e32 v[46:47], v[36:37], v[30:31]
	v_add_f64_e64 v[36:37], v[182:183], -v[176:177]
	v_add_f64_e32 v[30:31], v[210:211], v[208:209]
	s_delay_alu instid0(VALU_DEP_4) | instskip(SKIP_1) | instid1(VALU_DEP_4)
	v_add_f64_e32 v[32:33], v[34:35], v[32:33]
	v_dual_mov_b32 v177, v171 :: v_dual_mov_b32 v176, v170
	v_mul_f64_e32 v[42:43], s[24:25], v[36:37]
	s_delay_alu instid0(VALU_DEP_1) | instskip(SKIP_1) | instid1(VALU_DEP_2)
	v_fma_f64 v[48:49], v[30:31], s[10:11], -v[42:43]
	v_fma_f64 v[34:35], v[30:31], s[10:11], v[42:43]
	v_add_f64_e32 v[50:51], v[48:49], v[40:41]
	v_mul_f64_e32 v[48:49], s[26:27], v[36:37]
	s_delay_alu instid0(VALU_DEP_3) | instskip(NEXT) | instid1(VALU_DEP_2)
	v_add_f64_e32 v[28:29], v[34:35], v[28:29]
	v_fma_f64 v[40:41], v[30:31], s[2:3], -v[48:49]
	v_fma_f64 v[34:35], v[30:31], s[2:3], v[48:49]
	s_delay_alu instid0(VALU_DEP_2) | instskip(SKIP_2) | instid1(VALU_DEP_4)
	v_add_f64_e32 v[56:57], v[40:41], v[46:47]
	v_add_f64_e64 v[46:47], v[172:173], -v[196:197]
	v_add_f64_e32 v[40:41], v[204:205], v[52:53]
	v_add_f64_e32 v[32:33], v[34:35], v[32:33]
	v_dual_mov_b32 v173, v159 :: v_dual_mov_b32 v172, v158
	s_delay_alu instid0(VALU_DEP_4) | instskip(NEXT) | instid1(VALU_DEP_1)
	v_mul_f64_e32 v[54:55], s[28:29], v[46:47]
	v_fma_f64 v[58:59], v[40:41], s[12:13], -v[54:55]
	v_fma_f64 v[34:35], v[40:41], s[12:13], v[54:55]
	s_delay_alu instid0(VALU_DEP_2) | instskip(SKIP_1) | instid1(VALU_DEP_3)
	v_add_f64_e32 v[64:65], v[58:59], v[50:51]
	v_mul_f64_e32 v[58:59], s[30:31], v[46:47]
	v_add_f64_e32 v[28:29], v[34:35], v[28:29]
	s_delay_alu instid0(VALU_DEP_2) | instskip(SKIP_1) | instid1(VALU_DEP_2)
	v_fma_f64 v[50:51], v[40:41], s[22:23], -v[58:59]
	v_fma_f64 v[34:35], v[40:41], s[22:23], v[58:59]
	v_add_f64_e32 v[70:71], v[50:51], v[56:57]
	v_add_f64_e64 v[56:57], v[194:195], -v[174:175]
	v_add_f64_e32 v[50:51], v[60:61], v[206:207]
	s_delay_alu instid0(VALU_DEP_4) | instskip(SKIP_1) | instid1(VALU_DEP_4)
	v_add_f64_e32 v[32:33], v[34:35], v[32:33]
	v_dual_mov_b32 v175, v119 :: v_dual_mov_b32 v174, v118
	v_mul_f64_e32 v[62:63], s[34:35], v[56:57]
	s_delay_alu instid0(VALU_DEP_1) | instskip(SKIP_1) | instid1(VALU_DEP_2)
	v_fma_f64 v[66:67], v[50:51], s[22:23], -v[62:63]
	v_fma_f64 v[34:35], v[50:51], s[22:23], v[62:63]
	v_add_f64_e32 v[66:67], v[66:67], v[64:65]
	v_mul_f64_e32 v[64:65], s[14:15], v[56:57]
	s_delay_alu instid0(VALU_DEP_3) | instskip(NEXT) | instid1(VALU_DEP_2)
	v_add_f64_e32 v[28:29], v[34:35], v[28:29]
	v_fma_f64 v[72:73], v[50:51], s[6:7], -v[64:65]
	v_fma_f64 v[34:35], v[50:51], s[6:7], v[64:65]
	s_delay_alu instid0(VALU_DEP_2) | instskip(SKIP_2) | instid1(VALU_DEP_4)
	v_add_f64_e32 v[104:105], v[72:73], v[70:71]
	v_and_b32_e32 v70, 0xffff, v236
	v_lshlrev_b32_e32 v71, 3, v237
	v_add_f64_e32 v[32:33], v[34:35], v[32:33]
	s_delay_alu instid0(VALU_DEP_3) | instskip(NEXT) | instid1(VALU_DEP_1)
	v_mul_u32_u24_e32 v70, 0x268, v70
	v_add3_u32 v70, 0, v70, v71
	ds_store_2addr_b64 v70, v[66:67], v[104:105] offset0:14 offset1:21
	v_mul_f64_e32 v[66:67], s[14:15], v[24:25]
	v_mul_f64_e32 v[104:105], s[28:29], v[26:27]
	ds_store_2addr_b64 v70, v[32:33], v[28:29] offset0:56 offset1:63
	v_mul_f64_e32 v[26:27], s[20:21], v[26:27]
	v_fma_f64 v[71:72], v[10:11], s[6:7], -v[66:67]
	v_fma_f64 v[106:107], v[22:23], s[12:13], -v[104:105]
	v_fma_f64 v[66:67], v[10:11], s[6:7], v[66:67]
	s_delay_alu instid0(VALU_DEP_4) | instskip(NEXT) | instid1(VALU_DEP_4)
	v_fma_f64 v[32:33], v[22:23], s[2:3], -v[26:27]
	v_add_f64_e32 v[71:72], v[12:13], v[71:72]
	s_delay_alu instid0(VALU_DEP_3) | instskip(NEXT) | instid1(VALU_DEP_2)
	v_add_f64_e32 v[66:67], v[12:13], v[66:67]
	v_add_f64_e32 v[71:72], v[106:107], v[71:72]
	v_mul_f64_e32 v[106:107], s[18:19], v[24:25]
	v_mul_f64_e32 v[24:25], s[30:31], v[24:25]
	s_delay_alu instid0(VALU_DEP_2) | instskip(NEXT) | instid1(VALU_DEP_2)
	v_fma_f64 v[110:111], v[10:11], s[10:11], -v[106:107]
	v_fma_f64 v[28:29], v[10:11], s[22:23], -v[24:25]
	s_delay_alu instid0(VALU_DEP_2) | instskip(NEXT) | instid1(VALU_DEP_2)
	v_add_f64_e32 v[110:111], v[12:13], v[110:111]
	v_add_f64_e32 v[28:29], v[12:13], v[28:29]
	s_delay_alu instid0(VALU_DEP_2) | instskip(SKIP_1) | instid1(VALU_DEP_3)
	v_add_f64_e32 v[110:111], v[230:231], v[110:111]
	v_mul_f64_e32 v[230:231], s[30:31], v[36:37]
	v_add_f64_e32 v[28:29], v[32:33], v[28:29]
	v_mul_f64_e32 v[32:33], s[16:17], v[36:37]
	s_delay_alu instid0(VALU_DEP_3) | instskip(NEXT) | instid1(VALU_DEP_2)
	v_fma_f64 v[232:233], v[30:31], s[22:23], -v[230:231]
	v_fma_f64 v[34:35], v[30:31], s[12:13], -v[32:33]
	s_delay_alu instid0(VALU_DEP_2) | instskip(SKIP_1) | instid1(VALU_DEP_3)
	v_add_f64_e32 v[71:72], v[232:233], v[71:72]
	v_mul_f64_e32 v[232:233], s[14:15], v[36:37]
	v_add_f64_e32 v[28:29], v[34:35], v[28:29]
	v_mul_f64_e32 v[34:35], s[14:15], v[46:47]
	s_delay_alu instid0(VALU_DEP_3) | instskip(NEXT) | instid1(VALU_DEP_2)
	v_fma_f64 v[234:235], v[30:31], s[6:7], -v[232:233]
	v_fma_f64 v[36:37], v[40:41], s[6:7], -v[34:35]
	;; [unrolled: 8-line block ×3, first 2 shown]
	s_delay_alu instid0(VALU_DEP_2) | instskip(SKIP_1) | instid1(VALU_DEP_3)
	v_add_f64_e32 v[71:72], v[236:237], v[71:72]
	v_mul_f64_e32 v[236:237], s[26:27], v[46:47]
	v_add_f64_e32 v[28:29], v[38:39], v[28:29]
	v_add_f64_e32 v[38:39], v[12:13], v[2:3]
	s_delay_alu instid0(VALU_DEP_3) | instskip(NEXT) | instid1(VALU_DEP_2)
	v_fma_f64 v[241:242], v[40:41], s[2:3], -v[236:237]
	v_add_f64_e32 v[38:39], v[38:39], v[202:203]
	s_delay_alu instid0(VALU_DEP_2) | instskip(SKIP_1) | instid1(VALU_DEP_3)
	v_add_f64_e32 v[110:111], v[241:242], v[110:111]
	v_mul_f64_e32 v[241:242], s[26:27], v[56:57]
	v_add_f64_e32 v[38:39], v[38:39], v[210:211]
	s_delay_alu instid0(VALU_DEP_2) | instskip(NEXT) | instid1(VALU_DEP_2)
	v_fma_f64 v[243:244], v[50:51], s[2:3], -v[241:242]
	v_add_f64_e32 v[38:39], v[38:39], v[204:205]
	s_delay_alu instid0(VALU_DEP_2) | instskip(SKIP_1) | instid1(VALU_DEP_3)
	v_add_f64_e32 v[71:72], v[243:244], v[71:72]
	v_mul_f64_e32 v[243:244], s[16:17], v[56:57]
	v_add_f64_e32 v[38:39], v[38:39], v[60:61]
	s_delay_alu instid0(VALU_DEP_2) | instskip(NEXT) | instid1(VALU_DEP_2)
	v_fma_f64 v[245:246], v[50:51], s[12:13], -v[243:244]
	v_add_f64_e32 v[38:39], v[38:39], v[206:207]
	s_delay_alu instid0(VALU_DEP_2) | instskip(NEXT) | instid1(VALU_DEP_2)
	v_add_f64_e32 v[110:111], v[245:246], v[110:111]
	v_add_f64_e32 v[38:39], v[38:39], v[52:53]
	ds_store_2addr_b64 v70, v[71:72], v[110:111] offset0:28 offset1:35
	v_fma_f64 v[71:72], v[22:23], s[12:13], v[104:105]
	v_fma_f64 v[104:105], v[22:23], s[22:23], v[228:229]
	v_add_f64_e32 v[38:39], v[38:39], v[208:209]
	v_fma_f64 v[22:23], v[22:23], s[2:3], v[26:27]
	v_fma_f64 v[26:27], v[40:41], s[6:7], v[34:35]
	v_add_f64_e64 v[34:35], v[168:169], -v[116:117]
	v_add_f64_e32 v[66:67], v[71:72], v[66:67]
	v_fma_f64 v[71:72], v[10:11], s[10:11], v[106:107]
	v_fma_f64 v[10:11], v[10:11], s[22:23], v[24:25]
	v_add_f64_e32 v[38:39], v[38:39], v[44:45]
	v_fma_f64 v[24:25], v[30:31], s[12:13], v[32:33]
	v_mul_f64_e32 v[46:47], s[24:25], v[34:35]
	v_mul_f64_e32 v[110:111], s[34:35], v[34:35]
	v_add_f64_e32 v[71:72], v[12:13], v[71:72]
	v_add_f64_e32 v[10:11], v[12:13], v[10:11]
	v_add_f64_e64 v[12:13], v[216:217], -v[148:149]
	v_add_f64_e32 v[38:39], v[38:39], v[222:223]
	v_dual_mov_b32 v149, v135 :: v_dual_mov_b32 v148, v134
	v_add_f64_e32 v[71:72], v[104:105], v[71:72]
	v_fma_f64 v[104:105], v[30:31], s[22:23], v[230:231]
	v_add_f64_e32 v[10:11], v[22:23], v[10:11]
	v_add_f64_e32 v[22:23], v[220:221], v[218:219]
	ds_store_2addr_b64 v70, v[38:39], v[28:29] offset1:7
	v_fma_f64 v[28:29], v[50:51], s[10:11], v[36:37]
	v_add_f64_e32 v[36:37], v[170:171], v[198:199]
	v_mul_f64_e32 v[38:39], s[14:15], v[34:35]
	v_add_f64_e32 v[66:67], v[104:105], v[66:67]
	v_fma_f64 v[104:105], v[30:31], s[6:7], v[232:233]
	v_mul_f64_e32 v[30:31], s[20:21], v[12:13]
	v_add_f64_e32 v[10:11], v[24:25], v[10:11]
	v_add_f64_e64 v[24:25], v[136:137], -v[152:153]
	v_fma_f64 v[48:49], v[36:37], s[10:11], -v[46:47]
	v_fma_f64 v[228:229], v[36:37], s[22:23], -v[110:111]
	v_add_f64_e32 v[71:72], v[104:105], v[71:72]
	v_fma_f64 v[104:105], v[40:41], s[10:11], v[234:235]
	v_fma_f64 v[32:33], v[22:23], s[2:3], -v[30:31]
	v_add_f64_e32 v[10:11], v[26:27], v[10:11]
	v_add_f64_e64 v[26:27], v[160:161], -v[150:151]
	s_delay_alu instid0(VALU_DEP_4)
	v_add_f64_e32 v[66:67], v[104:105], v[66:67]
	v_fma_f64 v[104:105], v[40:41], s[2:3], v[236:237]
	v_add_f64_e32 v[32:33], v[14:15], v[32:33]
	v_fma_f64 v[40:41], v[36:37], s[6:7], -v[38:39]
	v_mul_f64_e32 v[58:59], s[28:29], v[26:27]
	v_add_f64_e32 v[10:11], v[28:29], v[10:11]
	v_add_f64_e64 v[28:29], v[138:139], -v[156:157]
	v_add_f64_e32 v[71:72], v[104:105], v[71:72]
	v_fma_f64 v[104:105], v[50:51], s[2:3], v[241:242]
	v_add_f64_e32 v[32:33], v[40:41], v[32:33]
	v_mul_f64_e32 v[40:41], s[16:17], v[12:13]
	s_delay_alu instid0(VALU_DEP_3) | instskip(SKIP_1) | instid1(VALU_DEP_3)
	v_add_f64_e32 v[66:67], v[104:105], v[66:67]
	v_fma_f64 v[104:105], v[50:51], s[12:13], v[243:244]
	v_fma_f64 v[42:43], v[22:23], s[12:13], -v[40:41]
	v_mul_f64_e32 v[50:51], s[24:25], v[24:25]
	s_delay_alu instid0(VALU_DEP_3) | instskip(NEXT) | instid1(VALU_DEP_3)
	v_add_f64_e32 v[71:72], v[104:105], v[71:72]
	v_add_f64_e32 v[42:43], v[14:15], v[42:43]
	ds_store_2addr_b64 v70, v[71:72], v[66:67] offset0:42 offset1:49
	v_add_f64_e32 v[42:43], v[48:49], v[42:43]
	v_add_f64_e32 v[48:49], v[140:141], v[158:159]
	v_mul_f64_e32 v[66:67], s[34:35], v[28:29]
	s_clause 0x7
	scratch_store_b64 off, v[168:169], off offset:184
	scratch_store_b64 off, v[116:117], off offset:304
	;; [unrolled: 1-line block ×8, first 2 shown]
	ds_store_b64 v70, v[10:11] offset:560
	v_and_b32_e32 v10, 0xffff, v239
	v_lshlrev_b32_e32 v11, 3, v240
	v_mov_b32_e32 v151, v129
	v_dual_mov_b32 v157, v141 :: v_dual_mov_b32 v150, v128
	s_delay_alu instid0(VALU_DEP_4) | instskip(SKIP_2) | instid1(VALU_DEP_1)
	v_mul_u32_u24_e32 v10, 0x268, v10
	v_mov_b32_e32 v156, v140
	v_fma_f64 v[54:55], v[48:49], s[10:11], -v[50:51]
	v_add_f64_e32 v[32:33], v[54:55], v[32:33]
	v_mul_f64_e32 v[54:55], s[26:27], v[24:25]
	s_delay_alu instid0(VALU_DEP_1) | instskip(NEXT) | instid1(VALU_DEP_1)
	v_fma_f64 v[56:57], v[48:49], s[2:3], -v[54:55]
	v_add_f64_e32 v[42:43], v[56:57], v[42:43]
	v_add_f64_e32 v[56:57], v[165:166], v[192:193]
	s_delay_alu instid0(VALU_DEP_1) | instskip(NEXT) | instid1(VALU_DEP_1)
	v_fma_f64 v[62:63], v[56:57], s[12:13], -v[58:59]
	v_add_f64_e32 v[32:33], v[62:63], v[32:33]
	v_mul_f64_e32 v[62:63], s[30:31], v[26:27]
	s_delay_alu instid0(VALU_DEP_1) | instskip(NEXT) | instid1(VALU_DEP_1)
	v_fma_f64 v[64:65], v[56:57], s[22:23], -v[62:63]
	v_add_f64_e32 v[42:43], v[64:65], v[42:43]
	v_add_f64_e32 v[64:65], v[145:146], v[162:163]
	s_delay_alu instid0(VALU_DEP_1) | instskip(NEXT) | instid1(VALU_DEP_1)
	v_fma_f64 v[71:72], v[64:65], s[22:23], -v[66:67]
	v_add_f64_e32 v[32:33], v[71:72], v[32:33]
	v_mul_f64_e32 v[72:73], s[14:15], v[28:29]
	v_add3_u32 v71, 0, v10, v11
	v_mul_f64_e32 v[10:11], s[14:15], v[12:13]
	s_delay_alu instid0(VALU_DEP_3) | instskip(NEXT) | instid1(VALU_DEP_1)
	v_fma_f64 v[104:105], v[64:65], s[6:7], -v[72:73]
	v_add_f64_e32 v[42:43], v[104:105], v[42:43]
	ds_store_2addr_b64 v71, v[32:33], v[42:43] offset0:14 offset1:21
	v_fma_f64 v[32:33], v[22:23], s[6:7], -v[10:11]
	v_mul_f64_e32 v[42:43], s[28:29], v[34:35]
	v_fma_f64 v[10:11], v[22:23], s[6:7], v[10:11]
	s_delay_alu instid0(VALU_DEP_3) | instskip(NEXT) | instid1(VALU_DEP_3)
	v_add_f64_e32 v[32:33], v[14:15], v[32:33]
	v_fma_f64 v[104:105], v[36:37], s[12:13], -v[42:43]
	s_delay_alu instid0(VALU_DEP_3) | instskip(NEXT) | instid1(VALU_DEP_2)
	v_add_f64_e32 v[10:11], v[14:15], v[10:11]
	v_add_f64_e32 v[32:33], v[104:105], v[32:33]
	v_mul_f64_e32 v[104:105], s[18:19], v[12:13]
	s_delay_alu instid0(VALU_DEP_1) | instskip(NEXT) | instid1(VALU_DEP_1)
	v_fma_f64 v[106:107], v[22:23], s[10:11], -v[104:105]
	v_add_f64_e32 v[106:107], v[14:15], v[106:107]
	s_delay_alu instid0(VALU_DEP_1) | instskip(SKIP_1) | instid1(VALU_DEP_1)
	v_add_f64_e32 v[106:107], v[228:229], v[106:107]
	v_mul_f64_e32 v[228:229], s[30:31], v[24:25]
	v_fma_f64 v[230:231], v[48:49], s[22:23], -v[228:229]
	s_delay_alu instid0(VALU_DEP_1) | instskip(SKIP_2) | instid1(VALU_DEP_2)
	v_add_f64_e32 v[32:33], v[230:231], v[32:33]
	v_mul_f64_e32 v[230:231], s[14:15], v[24:25]
	v_mul_f64_e32 v[24:25], s[16:17], v[24:25]
	v_fma_f64 v[232:233], v[48:49], s[6:7], -v[230:231]
	s_delay_alu instid0(VALU_DEP_1) | instskip(SKIP_1) | instid1(VALU_DEP_1)
	v_add_f64_e32 v[106:107], v[232:233], v[106:107]
	v_mul_f64_e32 v[232:233], s[18:19], v[26:27]
	v_fma_f64 v[234:235], v[56:57], s[10:11], -v[232:233]
	s_delay_alu instid0(VALU_DEP_1) | instskip(SKIP_2) | instid1(VALU_DEP_2)
	v_add_f64_e32 v[32:33], v[234:235], v[32:33]
	v_mul_f64_e32 v[234:235], s[26:27], v[26:27]
	v_mul_f64_e32 v[26:27], s[14:15], v[26:27]
	v_fma_f64 v[236:237], v[56:57], s[2:3], -v[234:235]
	;; [unrolled: 9-line block ×3, first 2 shown]
	s_delay_alu instid0(VALU_DEP_1) | instskip(SKIP_3) | instid1(VALU_DEP_2)
	v_add_f64_e32 v[106:107], v[241:242], v[106:107]
	ds_store_2addr_b64 v71, v[32:33], v[106:107] offset0:28 offset1:35
	v_fma_f64 v[32:33], v[36:37], s[12:13], v[42:43]
	v_fma_f64 v[42:43], v[36:37], s[22:23], v[110:111]
	v_add_f64_e32 v[10:11], v[32:33], v[10:11]
	v_fma_f64 v[32:33], v[22:23], s[10:11], v[104:105]
	s_delay_alu instid0(VALU_DEP_1) | instskip(NEXT) | instid1(VALU_DEP_1)
	v_add_f64_e32 v[32:33], v[14:15], v[32:33]
	v_add_f64_e32 v[32:33], v[42:43], v[32:33]
	v_fma_f64 v[42:43], v[48:49], s[22:23], v[228:229]
	s_delay_alu instid0(VALU_DEP_1) | instskip(SKIP_1) | instid1(VALU_DEP_1)
	v_add_f64_e32 v[10:11], v[42:43], v[10:11]
	v_fma_f64 v[42:43], v[48:49], s[6:7], v[230:231]
	v_add_f64_e32 v[32:33], v[42:43], v[32:33]
	v_fma_f64 v[42:43], v[56:57], s[10:11], v[232:233]
	s_delay_alu instid0(VALU_DEP_1) | instskip(SKIP_1) | instid1(VALU_DEP_1)
	v_add_f64_e32 v[10:11], v[42:43], v[10:11]
	v_fma_f64 v[42:43], v[56:57], s[2:3], v[234:235]
	;; [unrolled: 5-line block ×3, first 2 shown]
	v_add_f64_e32 v[32:33], v[42:43], v[32:33]
	ds_store_2addr_b64 v71, v[32:33], v[10:11] offset0:42 offset1:49
	v_fma_f64 v[10:11], v[22:23], s[2:3], v[30:31]
	v_fma_f64 v[30:31], v[36:37], s[6:7], v[38:39]
	;; [unrolled: 1-line block ×3, first 2 shown]
	v_add_f64_e32 v[38:39], v[214:215], v[18:19]
	s_delay_alu instid0(VALU_DEP_4) | instskip(NEXT) | instid1(VALU_DEP_1)
	v_add_f64_e32 v[10:11], v[14:15], v[10:11]
	v_add_f64_e32 v[10:11], v[30:31], v[10:11]
	v_fma_f64 v[30:31], v[22:23], s[12:13], v[40:41]
	s_delay_alu instid0(VALU_DEP_1) | instskip(NEXT) | instid1(VALU_DEP_1)
	v_add_f64_e32 v[30:31], v[14:15], v[30:31]
	v_add_f64_e32 v[30:31], v[32:33], v[30:31]
	v_fma_f64 v[32:33], v[48:49], s[10:11], v[50:51]
	s_delay_alu instid0(VALU_DEP_1) | instskip(SKIP_1) | instid1(VALU_DEP_1)
	v_add_f64_e32 v[10:11], v[32:33], v[10:11]
	v_fma_f64 v[32:33], v[48:49], s[2:3], v[54:55]
	v_add_f64_e32 v[30:31], v[32:33], v[30:31]
	v_fma_f64 v[32:33], v[56:57], s[12:13], v[58:59]
	s_delay_alu instid0(VALU_DEP_1) | instskip(SKIP_1) | instid1(VALU_DEP_1)
	v_add_f64_e32 v[10:11], v[32:33], v[10:11]
	v_fma_f64 v[32:33], v[56:57], s[22:23], v[62:63]
	;; [unrolled: 5-line block ×3, first 2 shown]
	v_add_f64_e32 v[30:31], v[32:33], v[30:31]
	ds_store_2addr_b64 v71, v[30:31], v[10:11] offset0:56 offset1:63
	v_mul_f64_e32 v[10:11], s[30:31], v[12:13]
	s_delay_alu instid0(VALU_DEP_1) | instskip(SKIP_2) | instid1(VALU_DEP_3)
	v_fma_f64 v[12:13], v[22:23], s[22:23], -v[10:11]
	v_fma_f64 v[10:11], v[22:23], s[22:23], v[10:11]
	v_mul_f64_e32 v[22:23], s[20:21], v[34:35]
	v_add_f64_e32 v[12:13], v[14:15], v[12:13]
	s_delay_alu instid0(VALU_DEP_3) | instskip(SKIP_1) | instid1(VALU_DEP_4)
	v_add_f64_e32 v[10:11], v[14:15], v[10:11]
	v_add_f64_e32 v[14:15], v[14:15], v[220:221]
	v_fma_f64 v[30:31], v[36:37], s[2:3], -v[22:23]
	v_fma_f64 v[22:23], v[36:37], s[2:3], v[22:23]
	s_delay_alu instid0(VALU_DEP_3) | instskip(NEXT) | instid1(VALU_DEP_3)
	v_add_f64_e32 v[14:15], v[14:15], v[170:171]
	v_add_f64_e32 v[12:13], v[30:31], v[12:13]
	v_fma_f64 v[30:31], v[48:49], s[12:13], -v[24:25]
	s_delay_alu instid0(VALU_DEP_4)
	v_add_f64_e32 v[10:11], v[22:23], v[10:11]
	v_add_f64_e64 v[22:23], v[74:75], -v[82:83]
	v_fma_f64 v[24:25], v[48:49], s[12:13], v[24:25]
	v_add_f64_e32 v[48:49], v[142:143], v[112:113]
	v_dual_mov_b32 v171, v79 :: v_dual_mov_b32 v170, v78
	v_add_f64_e32 v[14:15], v[14:15], v[140:141]
	v_add_f64_e32 v[12:13], v[30:31], v[12:13]
	v_fma_f64 v[30:31], v[56:57], s[6:7], -v[26:27]
	v_fma_f64 v[26:27], v[56:57], s[6:7], v[26:27]
	v_add_f64_e32 v[10:11], v[24:25], v[10:11]
	v_add_f64_e64 v[24:25], v[76:77], -v[80:81]
	v_add_f64_e32 v[14:15], v[14:15], v[165:166]
	v_dual_mov_b32 v167, v143 :: v_dual_mov_b32 v166, v142
	v_add_f64_e32 v[12:13], v[30:31], v[12:13]
	v_fma_f64 v[30:31], v[64:65], s[10:11], -v[28:29]
	v_add_f64_e32 v[10:11], v[26:27], v[10:11]
	v_mul_f64_e32 v[56:57], s[16:17], v[24:25]
	v_add_f64_e64 v[26:27], v[90:91], -v[120:121]
	v_fma_f64 v[28:29], v[64:65], s[10:11], v[28:29]
	v_add_f64_e32 v[14:15], v[14:15], v[145:146]
	v_add_f64_e32 v[12:13], v[30:31], v[12:13]
	s_delay_alu instid0(VALU_DEP_4) | instskip(NEXT) | instid1(VALU_DEP_4)
	v_mul_f64_e32 v[62:63], s[14:15], v[26:27]
	v_add_f64_e32 v[10:11], v[28:29], v[10:11]
	v_add_f64_e64 v[28:29], v[88:89], -v[84:85]
	v_add_f64_e32 v[14:15], v[14:15], v[162:163]
	s_delay_alu instid0(VALU_DEP_2) | instskip(NEXT) | instid1(VALU_DEP_2)
	v_mul_f64_e32 v[66:67], s[18:19], v[28:29]
	v_add_f64_e32 v[14:15], v[14:15], v[192:193]
	s_delay_alu instid0(VALU_DEP_1) | instskip(SKIP_1) | instid1(VALU_DEP_2)
	v_add_f64_e32 v[14:15], v[14:15], v[158:159]
	v_dual_mov_b32 v159, v87 :: v_dual_mov_b32 v158, v86
	v_add_f64_e32 v[14:15], v[14:15], v[198:199]
	s_delay_alu instid0(VALU_DEP_1)
	v_add_f64_e32 v[14:15], v[14:15], v[218:219]
	ds_store_2addr_b64 v71, v[14:15], v[12:13] offset1:7
	v_add_f64_e64 v[12:13], v[212:213], -v[186:187]
	s_clause 0x7
	scratch_store_b64 off, v[74:75], off offset:232
	scratch_store_b64 off, v[82:83], off offset:200
	scratch_store_b64 off, v[76:77], off offset:240
	scratch_store_b64 off, v[80:81], off offset:208
	scratch_store_b64 off, v[90:91], off offset:256
	scratch_store_b64 off, v[120:121], off offset:248
	scratch_store_b64 off, v[88:89], off offset:280
	scratch_store_b64 off, v[84:85], off offset:264
	ds_store_b64 v71, v[10:11] offset:560
	v_and_b32_e32 v10, 0xffff, v238
	v_lshlrev_b32_e32 v11, 3, v227
	v_lshlrev_b32_e32 v91, 3, v69
	s_delay_alu instid0(VALU_DEP_3)
	v_mul_u32_u24_e32 v10, 0x268, v10
	v_mul_f64_e32 v[14:15], s[30:31], v[12:13]
	v_mul_f64_e32 v[30:31], s[20:21], v[12:13]
	;; [unrolled: 1-line block ×5, first 2 shown]
	v_fma_f64 v[40:41], v[38:39], s[22:23], -v[14:15]
	v_fma_f64 v[14:15], v[38:39], s[22:23], v[14:15]
	v_fma_f64 v[42:43], v[38:39], s[2:3], -v[30:31]
	v_fma_f64 v[30:31], v[38:39], s[2:3], v[30:31]
	;; [unrolled: 2-line block ×5, first 2 shown]
	v_add_f64_e32 v[36:37], v[8:9], v[40:41]
	v_add_f64_e32 v[14:15], v[8:9], v[14:15]
	;; [unrolled: 1-line block ×11, first 2 shown]
	v_mul_f64_e32 v[50:51], s[20:21], v[22:23]
	s_delay_alu instid0(VALU_DEP_2) | instskip(NEXT) | instid1(VALU_DEP_2)
	v_add_f64_e32 v[8:9], v[8:9], v[142:143]
	v_fma_f64 v[54:55], v[48:49], s[2:3], -v[50:51]
	s_delay_alu instid0(VALU_DEP_2) | instskip(NEXT) | instid1(VALU_DEP_2)
	v_add_f64_e32 v[8:9], v[8:9], v[78:79]
	v_add_f64_e32 v[36:37], v[54:55], v[36:37]
	v_add_f64_e32 v[54:55], v[78:79], v[118:119]
	s_delay_alu instid0(VALU_DEP_3) | instskip(NEXT) | instid1(VALU_DEP_2)
	v_add_f64_e32 v[8:9], v[8:9], v[134:135]
	v_fma_f64 v[58:59], v[54:55], s[12:13], -v[56:57]
	s_delay_alu instid0(VALU_DEP_2) | instskip(NEXT) | instid1(VALU_DEP_2)
	v_add_f64_e32 v[8:9], v[8:9], v[128:129]
	v_add_f64_e32 v[36:37], v[58:59], v[36:37]
	v_add_f64_e32 v[58:59], v[134:135], v[124:125]
	s_delay_alu instid0(VALU_DEP_3) | instskip(NEXT) | instid1(VALU_DEP_2)
	v_add_f64_e32 v[8:9], v[8:9], v[86:87]
	v_fma_f64 v[64:65], v[58:59], s[6:7], -v[62:63]
	s_delay_alu instid0(VALU_DEP_2) | instskip(NEXT) | instid1(VALU_DEP_2)
	v_add_f64_e32 v[8:9], v[8:9], v[124:125]
	v_add_f64_e32 v[36:37], v[64:65], v[36:37]
	v_add_f64_e32 v[64:65], v[128:129], v[86:87]
	s_delay_alu instid0(VALU_DEP_3) | instskip(NEXT) | instid1(VALU_DEP_2)
	v_add_f64_e32 v[8:9], v[8:9], v[118:119]
	v_fma_f64 v[72:73], v[64:65], s[10:11], -v[66:67]
	s_delay_alu instid0(VALU_DEP_2) | instskip(NEXT) | instid1(VALU_DEP_2)
	v_add_f64_e32 v[8:9], v[8:9], v[112:113]
	v_add_f64_e32 v[36:37], v[72:73], v[36:37]
	v_add3_u32 v72, 0, v10, v11
	s_delay_alu instid0(VALU_DEP_3) | instskip(SKIP_3) | instid1(VALU_DEP_2)
	v_add_f64_e32 v[8:9], v[8:9], v[18:19]
	ds_store_2addr_b64 v72, v[8:9], v[36:37] offset1:7
	v_mul_f64_e32 v[8:9], s[14:15], v[22:23]
	v_mul_f64_e32 v[36:37], s[24:25], v[22:23]
	v_fma_f64 v[10:11], v[48:49], s[6:7], -v[8:9]
	v_fma_f64 v[8:9], v[48:49], s[6:7], v[8:9]
	s_delay_alu instid0(VALU_DEP_2) | instskip(NEXT) | instid1(VALU_DEP_4)
	v_add_f64_e32 v[10:11], v[10:11], v[38:39]
	v_fma_f64 v[38:39], v[48:49], s[10:11], -v[36:37]
	s_delay_alu instid0(VALU_DEP_3) | instskip(NEXT) | instid1(VALU_DEP_2)
	v_add_f64_e32 v[8:9], v[8:9], v[30:31]
	v_add_f64_e32 v[38:39], v[38:39], v[40:41]
	v_mul_f64_e32 v[40:41], s[24:25], v[24:25]
	s_delay_alu instid0(VALU_DEP_1) | instskip(NEXT) | instid1(VALU_DEP_1)
	v_fma_f64 v[104:105], v[54:55], s[10:11], -v[40:41]
	v_add_f64_e32 v[10:11], v[104:105], v[10:11]
	v_mul_f64_e32 v[104:105], s[26:27], v[24:25]
	s_delay_alu instid0(VALU_DEP_1) | instskip(NEXT) | instid1(VALU_DEP_1)
	v_fma_f64 v[106:107], v[54:55], s[2:3], -v[104:105]
	;; [unrolled: 4-line block ×6, first 2 shown]
	v_add_f64_e32 v[38:39], v[231:232], v[38:39]
	ds_store_2addr_b64 v72, v[10:11], v[38:39] offset0:14 offset1:21
	v_mul_f64_e32 v[10:11], s[28:29], v[22:23]
	v_mul_f64_e32 v[22:23], s[34:35], v[22:23]
	s_delay_alu instid0(VALU_DEP_2) | instskip(SKIP_1) | instid1(VALU_DEP_2)
	v_fma_f64 v[38:39], v[48:49], s[12:13], -v[10:11]
	v_fma_f64 v[10:11], v[48:49], s[12:13], v[10:11]
	v_add_f64_e32 v[38:39], v[38:39], v[42:43]
	s_delay_alu instid0(VALU_DEP_4) | instskip(SKIP_1) | instid1(VALU_DEP_4)
	v_fma_f64 v[42:43], v[48:49], s[22:23], -v[22:23]
	v_fma_f64 v[22:23], v[48:49], s[22:23], v[22:23]
	v_add_f64_e32 v[10:11], v[10:11], v[34:35]
	s_delay_alu instid0(VALU_DEP_3) | instskip(SKIP_3) | instid1(VALU_DEP_3)
	v_add_f64_e32 v[42:43], v[42:43], v[46:47]
	v_mul_f64_e32 v[46:47], s[30:31], v[24:25]
	v_mul_f64_e32 v[24:25], s[14:15], v[24:25]
	v_add_f64_e32 v[12:13], v[22:23], v[12:13]
	v_fma_f64 v[231:232], v[54:55], s[22:23], -v[46:47]
	v_fma_f64 v[22:23], v[54:55], s[22:23], v[46:47]
	s_delay_alu instid0(VALU_DEP_2) | instskip(SKIP_1) | instid1(VALU_DEP_3)
	v_add_f64_e32 v[38:39], v[231:232], v[38:39]
	v_fma_f64 v[231:232], v[54:55], s[6:7], -v[24:25]
	v_add_f64_e32 v[10:11], v[22:23], v[10:11]
	v_fma_f64 v[22:23], v[54:55], s[6:7], v[24:25]
	s_delay_alu instid0(VALU_DEP_3) | instskip(SKIP_2) | instid1(VALU_DEP_4)
	v_add_f64_e32 v[42:43], v[231:232], v[42:43]
	v_mul_f64_e32 v[231:232], s[18:19], v[26:27]
	v_mul_f64_e32 v[26:27], s[26:27], v[26:27]
	v_add_f64_e32 v[12:13], v[22:23], v[12:13]
	s_delay_alu instid0(VALU_DEP_3) | instskip(SKIP_1) | instid1(VALU_DEP_2)
	v_fma_f64 v[233:234], v[58:59], s[10:11], -v[231:232]
	v_fma_f64 v[22:23], v[58:59], s[10:11], v[231:232]
	v_add_f64_e32 v[38:39], v[233:234], v[38:39]
	v_fma_f64 v[233:234], v[58:59], s[2:3], -v[26:27]
	s_delay_alu instid0(VALU_DEP_3) | instskip(SKIP_1) | instid1(VALU_DEP_3)
	v_add_f64_e32 v[10:11], v[22:23], v[10:11]
	v_fma_f64 v[22:23], v[58:59], s[2:3], v[26:27]
	v_add_f64_e32 v[42:43], v[233:234], v[42:43]
	v_mul_f64_e32 v[233:234], s[26:27], v[28:29]
	v_mul_f64_e32 v[28:29], s[16:17], v[28:29]
	s_delay_alu instid0(VALU_DEP_4) | instskip(NEXT) | instid1(VALU_DEP_3)
	v_add_f64_e32 v[12:13], v[22:23], v[12:13]
	v_fma_f64 v[22:23], v[64:65], s[2:3], v[233:234]
	v_fma_f64 v[235:236], v[64:65], s[2:3], -v[233:234]
	s_delay_alu instid0(VALU_DEP_2) | instskip(SKIP_1) | instid1(VALU_DEP_3)
	v_add_f64_e32 v[10:11], v[22:23], v[10:11]
	v_fma_f64 v[22:23], v[64:65], s[12:13], v[28:29]
	v_add_f64_e32 v[38:39], v[235:236], v[38:39]
	v_fma_f64 v[235:236], v[64:65], s[12:13], -v[28:29]
	s_delay_alu instid0(VALU_DEP_3) | instskip(NEXT) | instid1(VALU_DEP_2)
	v_add_f64_e32 v[12:13], v[22:23], v[12:13]
	v_add_f64_e32 v[42:43], v[235:236], v[42:43]
	ds_store_2addr_b64 v72, v[12:13], v[10:11] offset0:42 offset1:49
	v_fma_f64 v[10:11], v[48:49], s[10:11], v[36:37]
	v_fma_f64 v[12:13], v[54:55], s[10:11], v[40:41]
	ds_store_2addr_b64 v72, v[38:39], v[42:43] offset0:28 offset1:35
	v_add_f64_e32 v[10:11], v[10:11], v[32:33]
	v_add_f64_e32 v[8:9], v[12:13], v[8:9]
	v_fma_f64 v[12:13], v[54:55], s[2:3], v[104:105]
	s_delay_alu instid0(VALU_DEP_1) | instskip(SKIP_1) | instid1(VALU_DEP_1)
	v_add_f64_e32 v[10:11], v[12:13], v[10:11]
	v_fma_f64 v[12:13], v[58:59], s[12:13], v[106:107]
	v_add_f64_e32 v[8:9], v[12:13], v[8:9]
	v_fma_f64 v[12:13], v[58:59], s[22:23], v[110:111]
	s_delay_alu instid0(VALU_DEP_1) | instskip(SKIP_2) | instid1(VALU_DEP_2)
	v_add_f64_e32 v[10:11], v[12:13], v[10:11]
	v_fma_f64 v[12:13], v[64:65], s[22:23], v[227:228]
	v_and_b32_e32 v227, 0xffff, v68
	v_add_f64_e32 v[8:9], v[12:13], v[8:9]
	v_fma_f64 v[12:13], v[64:65], s[6:7], v[229:230]
	s_delay_alu instid0(VALU_DEP_1) | instskip(SKIP_4) | instid1(VALU_DEP_2)
	v_add_f64_e32 v[10:11], v[12:13], v[10:11]
	v_fma_f64 v[12:13], v[58:59], s[6:7], v[62:63]
	ds_store_2addr_b64 v72, v[10:11], v[8:9] offset0:56 offset1:63
	v_fma_f64 v[8:9], v[48:49], s[2:3], v[50:51]
	v_fma_f64 v[10:11], v[54:55], s[12:13], v[56:57]
	v_add_f64_e32 v[8:9], v[8:9], v[14:15]
	s_delay_alu instid0(VALU_DEP_1) | instskip(SKIP_1) | instid1(VALU_DEP_2)
	v_add_f64_e32 v[8:9], v[10:11], v[8:9]
	v_fma_f64 v[10:11], v[64:65], s[10:11], v[66:67]
	v_add_f64_e32 v[8:9], v[12:13], v[8:9]
	s_delay_alu instid0(VALU_DEP_1)
	v_add_f64_e32 v[8:9], v[10:11], v[8:9]
	ds_store_b64 v72, v[8:9] offset:560
	s_and_saveexec_b32 s1, s0
	s_cbranch_execz .LBB0_17
; %bb.16:
	s_clause 0x7
	scratch_load_b64 v[8:9], off, off offset:24
	scratch_load_b64 v[10:11], off, off offset:168
	;; [unrolled: 1-line block ×8, first 2 shown]
	s_wait_loadcnt 0x6
	v_add_f64_e64 v[8:9], v[10:11], -v[8:9]
	s_wait_loadcnt 0x4
	v_add_f64_e32 v[10:11], v[89:90], v[94:95]
	s_wait_loadcnt 0x2
	v_add_f64_e64 v[22:23], v[24:25], -v[22:23]
	s_wait_loadcnt 0x0
	v_add_f64_e32 v[24:25], v[85:86], v[87:88]
	s_delay_alu instid0(VALU_DEP_4) | instskip(NEXT) | instid1(VALU_DEP_3)
	v_mul_f64_e32 v[12:13], s[16:17], v[8:9]
	v_mul_f64_e32 v[26:27], s[24:25], v[22:23]
	;; [unrolled: 1-line block ×4, first 2 shown]
	s_delay_alu instid0(VALU_DEP_4)
	v_fma_f64 v[14:15], v[10:11], s[12:13], -v[12:13]
	v_fma_f64 v[12:13], v[10:11], s[12:13], v[12:13]
	v_fma_f64 v[28:29], v[24:25], s[10:11], -v[26:27]
	v_fma_f64 v[34:35], v[24:25], s[6:7], -v[32:33]
	;; [unrolled: 1-line block ×3, first 2 shown]
	v_add_f64_e32 v[14:15], v[16:17], v[14:15]
	v_add_f64_e32 v[12:13], v[16:17], v[12:13]
	s_delay_alu instid0(VALU_DEP_2) | instskip(SKIP_1) | instid1(VALU_DEP_1)
	v_add_f64_e32 v[14:15], v[28:29], v[14:15]
	v_mul_f64_e32 v[28:29], s[20:21], v[8:9]
	v_fma_f64 v[30:31], v[10:11], s[2:3], -v[28:29]
	s_delay_alu instid0(VALU_DEP_1) | instskip(NEXT) | instid1(VALU_DEP_1)
	v_add_f64_e32 v[30:31], v[16:17], v[30:31]
	v_add_f64_e32 v[30:31], v[34:35], v[30:31]
	s_clause 0x3
	scratch_load_b64 v[34:35], off, off offset:40
	scratch_load_b64 v[36:37], off, off offset:112
	;; [unrolled: 1-line block ×4, first 2 shown]
	s_wait_loadcnt 0x2
	v_add_f64_e64 v[34:35], v[36:37], -v[34:35]
	s_wait_loadcnt 0x0
	v_add_f64_e32 v[36:37], v[81:82], v[83:84]
	s_delay_alu instid0(VALU_DEP_2) | instskip(NEXT) | instid1(VALU_DEP_1)
	v_mul_f64_e32 v[38:39], s[26:27], v[34:35]
	v_fma_f64 v[40:41], v[36:37], s[2:3], -v[38:39]
	s_delay_alu instid0(VALU_DEP_1) | instskip(SKIP_1) | instid1(VALU_DEP_1)
	v_add_f64_e32 v[14:15], v[40:41], v[14:15]
	v_mul_f64_e32 v[40:41], s[24:25], v[34:35]
	v_fma_f64 v[42:43], v[36:37], s[10:11], -v[40:41]
	s_delay_alu instid0(VALU_DEP_1)
	v_add_f64_e32 v[30:31], v[42:43], v[30:31]
	s_clause 0x3
	scratch_load_b64 v[42:43], off, off offset:64
	scratch_load_b64 v[46:47], off, off offset:88
	scratch_load_b64 v[77:78], off, off offset:96
	scratch_load_b64 v[79:80], off, off offset:104
	s_wait_loadcnt 0x2
	v_add_f64_e64 v[42:43], v[46:47], -v[42:43]
	s_wait_loadcnt 0x0
	v_add_f64_e32 v[46:47], v[77:78], v[79:80]
	s_delay_alu instid0(VALU_DEP_2) | instskip(NEXT) | instid1(VALU_DEP_1)
	v_mul_f64_e32 v[48:49], s[30:31], v[42:43]
	v_fma_f64 v[50:51], v[46:47], s[22:23], -v[48:49]
	s_delay_alu instid0(VALU_DEP_1) | instskip(SKIP_1) | instid1(VALU_DEP_1)
	v_add_f64_e32 v[14:15], v[50:51], v[14:15]
	v_mul_f64_e32 v[50:51], s[28:29], v[42:43]
	v_fma_f64 v[54:55], v[46:47], s[12:13], -v[50:51]
	s_delay_alu instid0(VALU_DEP_1)
	v_add_f64_e32 v[30:31], v[54:55], v[30:31]
	s_clause 0x3
	scratch_load_b64 v[54:55], off, off offset:48
	scratch_load_b64 v[56:57], off, off offset:56
	;; [unrolled: 1-line block ×4, first 2 shown]
	s_wait_loadcnt 0x2
	v_add_f64_e64 v[54:55], v[54:55], -v[56:57]
	s_wait_loadcnt 0x0
	v_add_f64_e32 v[56:57], v[73:74], v[75:76]
	s_delay_alu instid0(VALU_DEP_2) | instskip(NEXT) | instid1(VALU_DEP_1)
	v_mul_f64_e32 v[58:59], s[14:15], v[54:55]
	v_fma_f64 v[62:63], v[56:57], s[6:7], -v[58:59]
	s_delay_alu instid0(VALU_DEP_1) | instskip(SKIP_1) | instid1(VALU_DEP_1)
	v_add_f64_e32 v[14:15], v[62:63], v[14:15]
	v_mul_f64_e32 v[62:63], s[34:35], v[54:55]
	v_fma_f64 v[64:65], v[56:57], s[22:23], -v[62:63]
	s_delay_alu instid0(VALU_DEP_1) | instskip(SKIP_1) | instid1(VALU_DEP_1)
	v_add_f64_e32 v[30:31], v[64:65], v[30:31]
	v_mul_u32_u24_e32 v64, 0x268, v227
	v_add3_u32 v68, 0, v64, v91
	v_mul_f64_e32 v[64:65], s[34:35], v[22:23]
	ds_store_2addr_b64 v68, v[30:31], v[14:15] offset0:14 offset1:21
	v_mul_f64_e32 v[14:15], s[18:19], v[8:9]
	v_fma_f64 v[66:67], v[24:25], s[22:23], -v[64:65]
	s_delay_alu instid0(VALU_DEP_2) | instskip(SKIP_1) | instid1(VALU_DEP_2)
	v_fma_f64 v[30:31], v[10:11], s[10:11], -v[14:15]
	v_fma_f64 v[14:15], v[10:11], s[10:11], v[14:15]
	v_add_f64_e32 v[30:31], v[16:17], v[30:31]
	s_delay_alu instid0(VALU_DEP_2) | instskip(NEXT) | instid1(VALU_DEP_2)
	v_add_f64_e32 v[14:15], v[16:17], v[14:15]
	v_add_f64_e32 v[30:31], v[66:67], v[30:31]
	v_mul_f64_e32 v[66:67], s[14:15], v[8:9]
	v_mul_f64_e32 v[8:9], s[30:31], v[8:9]
	s_delay_alu instid0(VALU_DEP_2) | instskip(NEXT) | instid1(VALU_DEP_1)
	v_fma_f64 v[104:105], v[10:11], s[6:7], -v[66:67]
	v_add_f64_e32 v[104:105], v[16:17], v[104:105]
	s_delay_alu instid0(VALU_DEP_1) | instskip(SKIP_1) | instid1(VALU_DEP_1)
	v_add_f64_e32 v[104:105], v[110:111], v[104:105]
	v_mul_f64_e32 v[110:111], s[14:15], v[34:35]
	v_fma_f64 v[228:229], v[36:37], s[6:7], -v[110:111]
	s_delay_alu instid0(VALU_DEP_1) | instskip(SKIP_1) | instid1(VALU_DEP_1)
	v_add_f64_e32 v[30:31], v[228:229], v[30:31]
	v_mul_f64_e32 v[228:229], s[30:31], v[34:35]
	v_fma_f64 v[230:231], v[36:37], s[22:23], -v[228:229]
	;; [unrolled: 4-line block ×6, first 2 shown]
	s_delay_alu instid0(VALU_DEP_1) | instskip(SKIP_3) | instid1(VALU_DEP_2)
	v_add_f64_e32 v[104:105], v[238:239], v[104:105]
	ds_store_2addr_b64 v68, v[104:105], v[30:31] offset0:28 offset1:35
	v_fma_f64 v[30:31], v[24:25], s[22:23], v[64:65]
	v_fma_f64 v[64:65], v[24:25], s[12:13], v[106:107]
	v_add_f64_e32 v[14:15], v[30:31], v[14:15]
	v_fma_f64 v[30:31], v[10:11], s[6:7], v[66:67]
	s_delay_alu instid0(VALU_DEP_1) | instskip(NEXT) | instid1(VALU_DEP_1)
	v_add_f64_e32 v[30:31], v[16:17], v[30:31]
	v_add_f64_e32 v[30:31], v[64:65], v[30:31]
	v_fma_f64 v[64:65], v[36:37], s[6:7], v[110:111]
	s_delay_alu instid0(VALU_DEP_1) | instskip(SKIP_1) | instid1(VALU_DEP_1)
	v_add_f64_e32 v[14:15], v[64:65], v[14:15]
	v_fma_f64 v[64:65], v[36:37], s[22:23], v[228:229]
	v_add_f64_e32 v[30:31], v[64:65], v[30:31]
	v_fma_f64 v[64:65], v[46:47], s[2:3], v[230:231]
	s_delay_alu instid0(VALU_DEP_1) | instskip(SKIP_1) | instid1(VALU_DEP_1)
	v_add_f64_e32 v[14:15], v[64:65], v[14:15]
	v_fma_f64 v[64:65], v[46:47], s[10:11], v[232:233]
	;; [unrolled: 5-line block ×3, first 2 shown]
	v_add_f64_e32 v[30:31], v[64:65], v[30:31]
	ds_store_2addr_b64 v68, v[14:15], v[30:31] offset0:42 offset1:49
	v_fma_f64 v[14:15], v[24:25], s[10:11], v[26:27]
	v_fma_f64 v[26:27], v[24:25], s[6:7], v[32:33]
	s_delay_alu instid0(VALU_DEP_2) | instskip(SKIP_1) | instid1(VALU_DEP_1)
	v_add_f64_e32 v[12:13], v[14:15], v[12:13]
	v_fma_f64 v[14:15], v[10:11], s[2:3], v[28:29]
	v_add_f64_e32 v[14:15], v[16:17], v[14:15]
	s_delay_alu instid0(VALU_DEP_1) | instskip(SKIP_1) | instid1(VALU_DEP_1)
	v_add_f64_e32 v[14:15], v[26:27], v[14:15]
	v_fma_f64 v[26:27], v[36:37], s[2:3], v[38:39]
	v_add_f64_e32 v[12:13], v[26:27], v[12:13]
	v_fma_f64 v[26:27], v[36:37], s[10:11], v[40:41]
	s_delay_alu instid0(VALU_DEP_1) | instskip(SKIP_1) | instid1(VALU_DEP_1)
	v_add_f64_e32 v[14:15], v[26:27], v[14:15]
	v_fma_f64 v[26:27], v[46:47], s[22:23], v[48:49]
	v_add_f64_e32 v[12:13], v[26:27], v[12:13]
	v_fma_f64 v[26:27], v[46:47], s[12:13], v[50:51]
	;; [unrolled: 5-line block ×3, first 2 shown]
	s_delay_alu instid0(VALU_DEP_1) | instskip(SKIP_4) | instid1(VALU_DEP_3)
	v_add_f64_e32 v[14:15], v[26:27], v[14:15]
	ds_store_2addr_b64 v68, v[12:13], v[14:15] offset0:56 offset1:63
	v_mul_f64_e32 v[12:13], s[20:21], v[22:23]
	v_fma_f64 v[14:15], v[10:11], s[22:23], -v[8:9]
	v_fma_f64 v[8:9], v[10:11], s[22:23], v[8:9]
	v_fma_f64 v[22:23], v[24:25], s[2:3], -v[12:13]
	s_delay_alu instid0(VALU_DEP_3) | instskip(SKIP_1) | instid1(VALU_DEP_4)
	v_add_f64_e32 v[14:15], v[16:17], v[14:15]
	v_fma_f64 v[10:11], v[24:25], s[2:3], v[12:13]
	v_add_f64_e32 v[8:9], v[16:17], v[8:9]
	s_delay_alu instid0(VALU_DEP_3) | instskip(SKIP_1) | instid1(VALU_DEP_3)
	v_add_f64_e32 v[14:15], v[22:23], v[14:15]
	v_mul_f64_e32 v[22:23], s[16:17], v[34:35]
	v_add_f64_e32 v[8:9], v[10:11], v[8:9]
	s_delay_alu instid0(VALU_DEP_2) | instskip(SKIP_1) | instid1(VALU_DEP_2)
	v_fma_f64 v[26:27], v[36:37], s[12:13], -v[22:23]
	v_fma_f64 v[12:13], v[36:37], s[12:13], v[22:23]
	v_add_f64_e32 v[14:15], v[26:27], v[14:15]
	v_mul_f64_e32 v[26:27], s[14:15], v[42:43]
	s_delay_alu instid0(VALU_DEP_3) | instskip(NEXT) | instid1(VALU_DEP_2)
	v_add_f64_e32 v[8:9], v[12:13], v[8:9]
	v_fma_f64 v[28:29], v[46:47], s[6:7], -v[26:27]
	v_fma_f64 v[10:11], v[46:47], s[6:7], v[26:27]
	s_delay_alu instid0(VALU_DEP_2) | instskip(SKIP_1) | instid1(VALU_DEP_3)
	v_add_f64_e32 v[14:15], v[28:29], v[14:15]
	v_mul_f64_e32 v[28:29], s[18:19], v[54:55]
	v_add_f64_e32 v[8:9], v[10:11], v[8:9]
	s_delay_alu instid0(VALU_DEP_2) | instskip(SKIP_1) | instid1(VALU_DEP_2)
	v_fma_f64 v[30:31], v[56:57], s[10:11], -v[28:29]
	v_fma_f64 v[12:13], v[56:57], s[10:11], v[28:29]
	v_add_f64_e32 v[14:15], v[30:31], v[14:15]
	v_add_f64_e32 v[30:31], v[16:17], v[89:90]
	s_delay_alu instid0(VALU_DEP_3) | instskip(NEXT) | instid1(VALU_DEP_2)
	v_add_f64_e32 v[8:9], v[12:13], v[8:9]
	v_add_f64_e32 v[30:31], v[30:31], v[85:86]
	ds_store_b64 v68, v[8:9] offset:560
	v_add_f64_e32 v[30:31], v[30:31], v[81:82]
	s_delay_alu instid0(VALU_DEP_1) | instskip(NEXT) | instid1(VALU_DEP_1)
	v_add_f64_e32 v[30:31], v[30:31], v[77:78]
	v_add_f64_e32 v[30:31], v[30:31], v[73:74]
	s_delay_alu instid0(VALU_DEP_1) | instskip(NEXT) | instid1(VALU_DEP_1)
	v_add_f64_e32 v[30:31], v[30:31], v[75:76]
	;; [unrolled: 3-line block ×3, first 2 shown]
	v_add_f64_e32 v[30:31], v[30:31], v[87:88]
	s_delay_alu instid0(VALU_DEP_1)
	v_add_f64_e32 v[30:31], v[30:31], v[94:95]
	ds_store_2addr_b64 v68, v[30:31], v[14:15] offset1:7
.LBB0_17:
	s_wait_alu 0xfffe
	s_or_b32 exec_lo, exec_lo, s1
	v_add_f64_e64 v[2:3], v[2:3], -v[222:223]
	v_dual_mov_b32 v163, v99 :: v_dual_mov_b32 v162, v98
	v_add_f64_e64 v[8:9], v[220:221], -v[218:219]
	v_dual_mov_b32 v147, v97 :: v_dual_mov_b32 v146, v96
	v_add_f64_e32 v[73:74], v[4:5], v[20:21]
	s_delay_alu instid0(VALU_DEP_4)
	v_add_f64_e32 v[22:23], v[20:21], v[162:163]
	v_add_f64_e32 v[248:249], v[6:7], v[216:217]
	v_add_f64_e64 v[108:109], v[202:203], -v[44:45]
	v_add_f64_e32 v[40:41], v[216:217], v[146:147]
	v_add_f64_e64 v[100:101], v[210:211], -v[208:209]
	v_add_f64_e32 v[114:115], v[225:226], v[200:201]
	v_add_f64_e32 v[228:229], v[0:1], v[212:213]
	v_dual_mov_b32 v178, v225 :: v_dual_mov_b32 v179, v226
	v_add_f64_e32 v[225:226], v[182:183], v[184:185]
	v_add_f64_e64 v[112:113], v[204:205], -v[52:53]
	v_dual_mov_b32 v191, v183 :: v_dual_mov_b32 v190, v182
	v_dual_mov_b32 v183, v127 :: v_dual_mov_b32 v182, v126
	v_add_f64_e64 v[96:97], v[60:61], -v[206:207]
	v_dual_mov_b32 v153, v131 :: v_dual_mov_b32 v152, v130
	v_add_nc_u32_e32 v203, 0x800, v254
	s_delay_alu instid0(VALU_DEP_4)
	v_add_f64_e32 v[136:137], v[182:183], v[196:197]
	v_add_nc_u32_e32 v202, 0x1800, v254
	global_wb scope:SCOPE_SE
	s_wait_storecnt_dscnt 0x0
	v_add_f64_e32 v[128:129], v[194:195], v[152:153]
	s_barrier_signal -1
	s_barrier_wait -1
	global_inv scope:SCOPE_SE
	v_add_nc_u32_e32 v205, 0x2000, v254
	v_add_nc_u32_e32 v204, 0x3000, v254
	;; [unrolled: 1-line block ×5, first 2 shown]
	v_mul_f64_e32 v[10:11], s[30:31], v[2:3]
	v_mul_f64_e32 v[12:13], s[20:21], v[2:3]
	;; [unrolled: 1-line block ×8, first 2 shown]
	v_add_nc_u32_e32 v209, 0x1c00, v254
	v_mul_f64_e32 v[116:117], s[14:15], v[108:109]
	v_mul_f64_e32 v[98:99], s[24:25], v[108:109]
	;; [unrolled: 1-line block ×4, first 2 shown]
	v_add_nc_u32_e32 v210, 0x3400, v254
	v_mul_f64_e32 v[142:143], s[28:29], v[112:113]
	v_mul_f64_e32 v[144:145], s[30:31], v[112:113]
	;; [unrolled: 1-line block ×4, first 2 shown]
	v_fma_f64 v[24:25], v[22:23], s[22:23], v[10:11]
	v_fma_f64 v[10:11], v[22:23], s[22:23], -v[10:11]
	v_fma_f64 v[26:27], v[22:23], s[2:3], v[12:13]
	v_fma_f64 v[12:13], v[22:23], s[2:3], -v[12:13]
	;; [unrolled: 2-line block ×5, first 2 shown]
	v_mul_f64_e32 v[22:23], s[30:31], v[8:9]
	v_mul_f64_e32 v[8:9], s[18:19], v[8:9]
	v_fma_f64 v[46:47], v[40:41], s[2:3], v[34:35]
	v_fma_f64 v[34:35], v[40:41], s[2:3], -v[34:35]
	v_fma_f64 v[48:49], v[40:41], s[12:13], v[36:37]
	v_fma_f64 v[36:37], v[40:41], s[12:13], -v[36:37]
	;; [unrolled: 2-line block ×3, first 2 shown]
	v_add_f64_e32 v[75:76], v[4:5], v[24:25]
	v_add_f64_e32 v[77:78], v[4:5], v[10:11]
	;; [unrolled: 1-line block ×10, first 2 shown]
	v_fma_f64 v[42:43], v[40:41], s[22:23], v[22:23]
	v_fma_f64 v[22:23], v[40:41], s[22:23], -v[22:23]
	v_fma_f64 v[54:55], v[40:41], s[10:11], v[8:9]
	v_fma_f64 v[8:9], v[40:41], s[10:11], -v[8:9]
	v_add_f64_e64 v[2:3], v[214:215], -v[18:19]
	v_add_f64_e32 v[252:253], v[6:7], v[46:47]
	v_add_f64_e32 v[230:231], v[6:7], v[34:35]
	;; [unrolled: 1-line block ×11, first 2 shown]
	v_mul_f64_e32 v[4:5], s[30:31], v[2:3]
	v_mul_f64_e32 v[6:7], s[20:21], v[2:3]
	;; [unrolled: 1-line block ×5, first 2 shown]
	v_fma_f64 v[18:19], v[16:17], s[22:23], v[4:5]
	v_fma_f64 v[4:5], v[16:17], s[22:23], -v[4:5]
	v_fma_f64 v[20:21], v[16:17], s[2:3], v[6:7]
	v_fma_f64 v[6:7], v[16:17], s[2:3], -v[6:7]
	;; [unrolled: 2-line block ×5, first 2 shown]
	v_add_f64_e32 v[238:239], v[0:1], v[18:19]
	v_add_f64_e32 v[106:107], v[0:1], v[4:5]
	;; [unrolled: 1-line block ×10, first 2 shown]
	v_fma_f64 v[0:1], v[114:115], s[6:7], v[116:117]
	v_fma_f64 v[2:3], v[114:115], s[10:11], v[98:99]
	;; [unrolled: 1-line block ×3, first 2 shown]
	v_fma_f64 v[68:69], v[225:226], s[10:11], -v[68:69]
	s_delay_alu instid0(VALU_DEP_4) | instskip(NEXT) | instid1(VALU_DEP_4)
	v_add_f64_e32 v[0:1], v[0:1], v[10:11]
	v_add_f64_e32 v[2:3], v[2:3], v[12:13]
	s_delay_alu instid0(VALU_DEP_2) | instskip(SKIP_1) | instid1(VALU_DEP_1)
	v_add_f64_e32 v[0:1], v[4:5], v[0:1]
	v_fma_f64 v[4:5], v[225:226], s[2:3], v[140:141]
	v_add_f64_e32 v[2:3], v[4:5], v[2:3]
	v_fma_f64 v[4:5], v[136:137], s[12:13], v[142:143]
	s_delay_alu instid0(VALU_DEP_1) | instskip(SKIP_1) | instid1(VALU_DEP_1)
	v_add_f64_e32 v[0:1], v[4:5], v[0:1]
	v_fma_f64 v[4:5], v[136:137], s[22:23], v[144:145]
	v_add_f64_e32 v[2:3], v[4:5], v[2:3]
	v_fma_f64 v[4:5], v[128:129], s[22:23], v[132:133]
	s_delay_alu instid0(VALU_DEP_1) | instskip(SKIP_1) | instid1(VALU_DEP_1)
	v_add_f64_e32 v[134:135], v[4:5], v[0:1]
	v_fma_f64 v[0:1], v[128:129], s[6:7], v[124:125]
	v_add_f64_e32 v[138:139], v[0:1], v[2:3]
	ds_load_b64 v[104:105], v254 offset:14960
	ds_load_2addr_b64 v[12:15], v254 offset1:55
	ds_load_2addr_b64 v[8:11], v254 offset0:110 offset1:165
	ds_load_2addr_b64 v[0:3], v203 offset0:74 offset1:129
	;; [unrolled: 1-line block ×16, first 2 shown]
	global_wb scope:SCOPE_SE
	s_wait_dscnt 0x0
	s_barrier_signal -1
	s_barrier_wait -1
	global_inv scope:SCOPE_SE
	ds_store_2addr_b64 v70, v[134:135], v[138:139] offset0:14 offset1:21
	v_mul_f64_e32 v[134:135], s[28:29], v[108:109]
	s_delay_alu instid0(VALU_DEP_1) | instskip(NEXT) | instid1(VALU_DEP_1)
	v_fma_f64 v[138:139], v[114:115], s[12:13], v[134:135]
	v_add_f64_e32 v[83:84], v[138:139], v[83:84]
	v_mul_f64_e32 v[138:139], s[34:35], v[108:109]
	s_delay_alu instid0(VALU_DEP_1) | instskip(NEXT) | instid1(VALU_DEP_1)
	v_fma_f64 v[126:127], v[114:115], s[22:23], v[138:139]
	v_add_f64_e32 v[87:88], v[126:127], v[87:88]
	;; [unrolled: 4-line block ×8, first 2 shown]
	ds_store_2addr_b64 v70, v[83:84], v[87:88] offset0:28 offset1:35
	v_fma_f64 v[83:84], v[114:115], s[12:13], -v[134:135]
	v_fma_f64 v[87:88], v[225:226], s[22:23], -v[126:127]
	s_delay_alu instid0(VALU_DEP_2) | instskip(SKIP_1) | instid1(VALU_DEP_2)
	v_add_f64_e32 v[83:84], v[83:84], v[85:86]
	v_fma_f64 v[85:86], v[114:115], s[22:23], -v[138:139]
	v_add_f64_e32 v[83:84], v[87:88], v[83:84]
	s_delay_alu instid0(VALU_DEP_2) | instskip(SKIP_4) | instid1(VALU_DEP_1)
	v_add_f64_e32 v[85:86], v[85:86], v[89:90]
	v_fma_f64 v[87:88], v[225:226], s[6:7], -v[164:165]
	scratch_load_b64 v[89:90], off, off offset:192 th:TH_LOAD_LU ; 8-byte Folded Reload
	v_add_f64_e32 v[85:86], v[87:88], v[85:86]
	v_fma_f64 v[87:88], v[136:137], s[10:11], -v[120:121]
	v_add_f64_e32 v[83:84], v[87:88], v[83:84]
	v_fma_f64 v[87:88], v[136:137], s[2:3], -v[118:119]
	s_delay_alu instid0(VALU_DEP_1) | instskip(SKIP_1) | instid1(VALU_DEP_1)
	v_add_f64_e32 v[85:86], v[87:88], v[85:86]
	v_fma_f64 v[87:88], v[128:129], s[2:3], -v[160:161]
	v_add_f64_e32 v[83:84], v[87:88], v[83:84]
	v_fma_f64 v[87:88], v[128:129], s[12:13], -v[168:169]
	s_delay_alu instid0(VALU_DEP_1) | instskip(SKIP_2) | instid1(VALU_DEP_1)
	v_add_f64_e32 v[85:86], v[87:88], v[85:86]
	ds_store_2addr_b64 v70, v[85:86], v[83:84] offset0:42 offset1:49
	v_fma_f64 v[83:84], v[114:115], s[6:7], -v[116:117]
	v_add_f64_e32 v[79:80], v[83:84], v[79:80]
	v_fma_f64 v[83:84], v[114:115], s[10:11], -v[98:99]
	s_delay_alu instid0(VALU_DEP_2) | instskip(NEXT) | instid1(VALU_DEP_2)
	v_add_f64_e32 v[68:69], v[68:69], v[79:80]
	v_add_f64_e32 v[81:82], v[83:84], v[81:82]
	v_fma_f64 v[79:80], v[225:226], s[2:3], -v[140:141]
	s_delay_alu instid0(VALU_DEP_1) | instskip(SKIP_1) | instid1(VALU_DEP_1)
	v_add_f64_e32 v[79:80], v[79:80], v[81:82]
	v_fma_f64 v[81:82], v[136:137], s[12:13], -v[142:143]
	v_add_f64_e32 v[68:69], v[81:82], v[68:69]
	v_fma_f64 v[81:82], v[136:137], s[22:23], -v[144:145]
	s_delay_alu instid0(VALU_DEP_1) | instskip(SKIP_1) | instid1(VALU_DEP_1)
	v_add_f64_e32 v[79:80], v[81:82], v[79:80]
	v_fma_f64 v[81:82], v[128:129], s[22:23], -v[132:133]
	v_add_f64_e32 v[68:69], v[81:82], v[68:69]
	v_fma_f64 v[81:82], v[128:129], s[6:7], -v[124:125]
	s_delay_alu instid0(VALU_DEP_1) | instskip(SKIP_3) | instid1(VALU_DEP_2)
	v_add_f64_e32 v[79:80], v[81:82], v[79:80]
	ds_store_2addr_b64 v70, v[79:80], v[68:69] offset0:56 offset1:63
	v_add_f64_e32 v[68:69], v[73:74], v[178:179]
	v_mul_f64_e32 v[73:74], s[20:21], v[108:109]
	v_add_f64_e32 v[68:69], v[68:69], v[190:191]
	s_delay_alu instid0(VALU_DEP_2) | instskip(NEXT) | instid1(VALU_DEP_2)
	v_fma_f64 v[79:80], v[114:115], s[2:3], v[73:74]
	v_add_f64_e32 v[68:69], v[68:69], v[182:183]
	s_delay_alu instid0(VALU_DEP_2) | instskip(SKIP_4) | instid1(VALU_DEP_2)
	v_add_f64_e32 v[75:76], v[79:80], v[75:76]
	v_mul_f64_e32 v[79:80], s[16:17], v[100:101]
	scratch_load_b64 v[100:101], off, off offset:224 th:TH_LOAD_LU ; 8-byte Folded Reload
	v_add_f64_e32 v[68:69], v[68:69], v[194:195]
	v_fma_f64 v[81:82], v[225:226], s[12:13], v[79:80]
	v_add_f64_e32 v[68:69], v[68:69], v[152:153]
	scratch_load_b64 v[152:153], off, off offset:256 th:TH_LOAD_LU ; 8-byte Folded Reload
	v_add_f64_e32 v[75:76], v[81:82], v[75:76]
	v_mul_f64_e32 v[81:82], s[14:15], v[112:113]
	v_add_f64_e32 v[68:69], v[68:69], v[196:197]
	s_delay_alu instid0(VALU_DEP_2) | instskip(NEXT) | instid1(VALU_DEP_2)
	v_fma_f64 v[83:84], v[136:137], s[6:7], v[81:82]
	v_add_f64_e32 v[68:69], v[68:69], v[184:185]
	s_delay_alu instid0(VALU_DEP_2) | instskip(SKIP_4) | instid1(VALU_DEP_2)
	v_add_f64_e32 v[75:76], v[83:84], v[75:76]
	v_mul_f64_e32 v[83:84], s[18:19], v[96:97]
	scratch_load_b64 v[96:97], off, off offset:272 th:TH_LOAD_LU ; 8-byte Folded Reload
	v_add_f64_e32 v[68:69], v[68:69], v[200:201]
	v_fma_f64 v[85:86], v[128:129], s[10:11], v[83:84]
	v_add_f64_e32 v[68:69], v[68:69], v[162:163]
	scratch_load_b64 v[162:163], off, off offset:264 th:TH_LOAD_LU ; 8-byte Folded Reload
	v_add_f64_e32 v[75:76], v[85:86], v[75:76]
	scratch_load_b64 v[85:86], off, off offset:216 th:TH_LOAD_LU ; 8-byte Folded Reload
	ds_store_2addr_b64 v70, v[68:69], v[75:76] offset1:7
	v_fma_f64 v[68:69], v[114:115], s[2:3], -v[73:74]
	v_fma_f64 v[73:74], v[225:226], s[12:13], -v[79:80]
	;; [unrolled: 1-line block ×3, first 2 shown]
	scratch_load_b64 v[81:82], off, off offset:288 th:TH_LOAD_LU ; 8-byte Folded Reload
	v_add_f64_e32 v[68:69], v[68:69], v[77:78]
	v_add_f64_e64 v[77:78], v[188:189], -v[122:123]
	scratch_load_b64 v[122:123], off, off offset:232 th:TH_LOAD_LU ; 8-byte Folded Reload
	v_add_f64_e32 v[68:69], v[73:74], v[68:69]
	v_fma_f64 v[73:74], v[128:129], s[10:11], -v[83:84]
	scratch_load_b64 v[83:84], off, off offset:184 th:TH_LOAD_LU ; 8-byte Folded Reload
	v_add_f64_e32 v[68:69], v[75:76], v[68:69]
	v_add_f64_e64 v[75:76], v[102:103], -v[192:193]
	scratch_load_b64 v[102:103], off, off offset:304 th:TH_LOAD_LU ; 8-byte Folded Reload
	v_add_f64_e32 v[68:69], v[73:74], v[68:69]
	v_add_f64_e64 v[73:74], v[156:157], -v[172:173]
	s_clause 0x1
	scratch_load_b64 v[156:157], off, off offset:280 th:TH_LOAD_LU
	scratch_load_b64 v[172:173], off, off offset:248 th:TH_LOAD_LU
	ds_store_b64 v70, v[68:69] offset:560
	v_add_f64_e64 v[68:69], v[176:177], -v[198:199]
	v_mul_f64_e32 v[114:115], s[24:25], v[73:74]
	v_mul_f64_e32 v[130:131], s[30:31], v[73:74]
	s_wait_loadcnt 0x3
	v_add_f64_e32 v[79:80], v[248:249], v[83:84]
	s_delay_alu instid0(VALU_DEP_1) | instskip(SKIP_2) | instid1(VALU_DEP_2)
	v_add_f64_e32 v[79:80], v[79:80], v[96:97]
	s_wait_loadcnt 0x2
	v_add_f64_e32 v[83:84], v[83:84], v[102:103]
	v_add_f64_e32 v[79:80], v[79:80], v[89:90]
	s_delay_alu instid0(VALU_DEP_1) | instskip(SKIP_1) | instid1(VALU_DEP_2)
	v_add_f64_e32 v[79:80], v[79:80], v[81:82]
	v_add_f64_e32 v[81:82], v[81:82], v[85:86]
	;; [unrolled: 1-line block ×3, first 2 shown]
	v_mul_f64_e32 v[85:86], s[20:21], v[68:69]
	s_delay_alu instid0(VALU_DEP_1) | instskip(NEXT) | instid1(VALU_DEP_1)
	v_fma_f64 v[87:88], v[83:84], s[2:3], v[85:86]
	v_add_f64_e32 v[87:88], v[87:88], v[94:95]
	scratch_load_b64 v[94:95], off, off offset:296 th:TH_LOAD_LU ; 8-byte Folded Reload
	s_wait_loadcnt 0x0
	v_add_f64_e32 v[89:90], v[89:90], v[94:95]
	v_add_f64_e32 v[79:80], v[79:80], v[94:95]
	;; [unrolled: 1-line block ×3, first 2 shown]
	v_mul_f64_e32 v[96:97], s[16:17], v[73:74]
	s_delay_alu instid0(VALU_DEP_3) | instskip(NEXT) | instid1(VALU_DEP_3)
	v_add_f64_e32 v[79:80], v[79:80], v[100:101]
	v_fma_f64 v[116:117], v[94:95], s[10:11], v[114:115]
	s_delay_alu instid0(VALU_DEP_3) | instskip(SKIP_1) | instid1(VALU_DEP_4)
	v_fma_f64 v[98:99], v[94:95], s[12:13], v[96:97]
	v_fma_f64 v[132:133], v[94:95], s[22:23], v[130:131]
	v_add_f64_e32 v[79:80], v[79:80], v[102:103]
	scratch_load_b64 v[102:103], off, off offset:200 th:TH_LOAD_LU ; 8-byte Folded Reload
	v_add_f64_e32 v[87:88], v[98:99], v[87:88]
	v_mul_f64_e32 v[98:99], s[14:15], v[75:76]
	v_add_f64_e32 v[79:80], v[79:80], v[146:147]
	scratch_load_b64 v[146:147], off, off offset:240 th:TH_LOAD_LU ; 8-byte Folded Reload
	v_fma_f64 v[100:101], v[89:90], s[6:7], v[98:99]
	s_delay_alu instid0(VALU_DEP_1) | instskip(SKIP_1) | instid1(VALU_DEP_1)
	v_add_f64_e32 v[87:88], v[100:101], v[87:88]
	v_mul_f64_e32 v[100:101], s[18:19], v[77:78]
	v_fma_f64 v[108:109], v[81:82], s[10:11], v[100:101]
	s_delay_alu instid0(VALU_DEP_1) | instskip(SKIP_4) | instid1(VALU_DEP_2)
	v_add_f64_e32 v[87:88], v[108:109], v[87:88]
	v_mul_f64_e32 v[108:109], s[24:25], v[68:69]
	ds_store_2addr_b64 v71, v[79:80], v[87:88] offset1:7
	v_mul_f64_e32 v[79:80], s[14:15], v[68:69]
	v_fma_f64 v[112:113], v[83:84], s[10:11], v[108:109]
	v_fma_f64 v[87:88], v[83:84], s[6:7], v[79:80]
	s_delay_alu instid0(VALU_DEP_2) | instskip(NEXT) | instid1(VALU_DEP_2)
	v_add_f64_e32 v[112:113], v[112:113], v[250:251]
	v_add_f64_e32 v[87:88], v[87:88], v[252:253]
	s_delay_alu instid0(VALU_DEP_1) | instskip(SKIP_2) | instid1(VALU_DEP_2)
	v_add_f64_e32 v[87:88], v[116:117], v[87:88]
	v_mul_f64_e32 v[116:117], s[26:27], v[73:74]
	v_mul_f64_e32 v[73:74], s[14:15], v[73:74]
	v_fma_f64 v[118:119], v[94:95], s[2:3], v[116:117]
	s_delay_alu instid0(VALU_DEP_1) | instskip(SKIP_1) | instid1(VALU_DEP_1)
	v_add_f64_e32 v[112:113], v[118:119], v[112:113]
	v_mul_f64_e32 v[118:119], s[28:29], v[75:76]
	v_fma_f64 v[120:121], v[89:90], s[12:13], v[118:119]
	s_delay_alu instid0(VALU_DEP_1) | instskip(SKIP_1) | instid1(VALU_DEP_1)
	v_add_f64_e32 v[87:88], v[120:121], v[87:88]
	v_mul_f64_e32 v[120:121], s[30:31], v[75:76]
	v_fma_f64 v[124:125], v[89:90], s[22:23], v[120:121]
	s_delay_alu instid0(VALU_DEP_1) | instskip(SKIP_1) | instid1(VALU_DEP_1)
	v_add_f64_e32 v[112:113], v[124:125], v[112:113]
	v_mul_f64_e32 v[124:125], s[34:35], v[77:78]
	v_fma_f64 v[126:127], v[81:82], s[22:23], v[124:125]
	s_delay_alu instid0(VALU_DEP_1) | instskip(SKIP_1) | instid1(VALU_DEP_1)
	v_add_f64_e32 v[87:88], v[126:127], v[87:88]
	v_mul_f64_e32 v[126:127], s[14:15], v[77:78]
	v_fma_f64 v[128:129], v[81:82], s[6:7], v[126:127]
	s_delay_alu instid0(VALU_DEP_1) | instskip(SKIP_3) | instid1(VALU_DEP_2)
	v_add_f64_e32 v[112:113], v[128:129], v[112:113]
	ds_store_2addr_b64 v71, v[87:88], v[112:113] offset0:14 offset1:21
	v_mul_f64_e32 v[87:88], s[28:29], v[68:69]
	v_mul_f64_e32 v[68:69], s[34:35], v[68:69]
	v_fma_f64 v[112:113], v[83:84], s[12:13], v[87:88]
	s_delay_alu instid0(VALU_DEP_2) | instskip(SKIP_2) | instid1(VALU_DEP_4)
	v_fma_f64 v[128:129], v[83:84], s[22:23], v[68:69]
	v_fma_f64 v[87:88], v[83:84], s[12:13], -v[87:88]
	v_fma_f64 v[68:69], v[83:84], s[22:23], -v[68:69]
	v_add_f64_e32 v[112:113], v[112:113], v[246:247]
	s_delay_alu instid0(VALU_DEP_4) | instskip(NEXT) | instid1(VALU_DEP_4)
	v_add_f64_e32 v[128:129], v[128:129], v[244:245]
	v_add_f64_e32 v[87:88], v[87:88], v[240:241]
	s_delay_alu instid0(VALU_DEP_4) | instskip(NEXT) | instid1(VALU_DEP_4)
	v_add_f64_e32 v[68:69], v[68:69], v[242:243]
	v_add_f64_e32 v[112:113], v[132:133], v[112:113]
	v_fma_f64 v[132:133], v[94:95], s[6:7], v[73:74]
	v_fma_f64 v[73:74], v[94:95], s[6:7], -v[73:74]
	s_delay_alu instid0(VALU_DEP_2) | instskip(SKIP_2) | instid1(VALU_DEP_4)
	v_add_f64_e32 v[128:129], v[132:133], v[128:129]
	v_mul_f64_e32 v[132:133], s[18:19], v[75:76]
	v_mul_f64_e32 v[75:76], s[26:27], v[75:76]
	v_add_f64_e32 v[68:69], v[73:74], v[68:69]
	s_delay_alu instid0(VALU_DEP_3) | instskip(SKIP_1) | instid1(VALU_DEP_2)
	v_fma_f64 v[134:135], v[89:90], s[10:11], v[132:133]
	v_fma_f64 v[73:74], v[89:90], s[10:11], -v[132:133]
	v_add_f64_e32 v[112:113], v[134:135], v[112:113]
	v_fma_f64 v[134:135], v[89:90], s[2:3], v[75:76]
	v_fma_f64 v[75:76], v[89:90], s[2:3], -v[75:76]
	s_delay_alu instid0(VALU_DEP_2) | instskip(SKIP_2) | instid1(VALU_DEP_4)
	v_add_f64_e32 v[128:129], v[134:135], v[128:129]
	v_mul_f64_e32 v[134:135], s[26:27], v[77:78]
	v_mul_f64_e32 v[77:78], s[16:17], v[77:78]
	v_add_f64_e32 v[68:69], v[75:76], v[68:69]
	s_delay_alu instid0(VALU_DEP_3) | instskip(SKIP_1) | instid1(VALU_DEP_2)
	v_fma_f64 v[136:137], v[81:82], s[2:3], v[134:135]
	v_fma_f64 v[75:76], v[81:82], s[2:3], -v[134:135]
	v_add_f64_e32 v[112:113], v[136:137], v[112:113]
	v_fma_f64 v[136:137], v[81:82], s[12:13], v[77:78]
	s_delay_alu instid0(VALU_DEP_1) | instskip(SKIP_2) | instid1(VALU_DEP_1)
	v_add_f64_e32 v[128:129], v[136:137], v[128:129]
	ds_store_2addr_b64 v71, v[112:113], v[128:129] offset0:28 offset1:35
	v_fma_f64 v[112:113], v[94:95], s[22:23], -v[130:131]
	v_add_f64_e32 v[87:88], v[112:113], v[87:88]
	s_delay_alu instid0(VALU_DEP_1) | instskip(NEXT) | instid1(VALU_DEP_1)
	v_add_f64_e32 v[73:74], v[73:74], v[87:88]
	v_add_f64_e32 v[73:74], v[75:76], v[73:74]
	v_fma_f64 v[75:76], v[81:82], s[12:13], -v[77:78]
	s_delay_alu instid0(VALU_DEP_1)
	v_add_f64_e32 v[68:69], v[75:76], v[68:69]
	v_fma_f64 v[75:76], v[94:95], s[10:11], -v[114:115]
	ds_store_2addr_b64 v71, v[68:69], v[73:74] offset0:42 offset1:49
	v_fma_f64 v[68:69], v[83:84], s[6:7], -v[79:80]
	v_fma_f64 v[73:74], v[83:84], s[10:11], -v[108:109]
	v_add_f64_e32 v[79:80], v[152:153], v[172:173]
	s_delay_alu instid0(VALU_DEP_3) | instskip(NEXT) | instid1(VALU_DEP_3)
	v_add_f64_e32 v[68:69], v[68:69], v[230:231]
	v_add_f64_e32 v[73:74], v[73:74], v[232:233]
	s_delay_alu instid0(VALU_DEP_2) | instskip(SKIP_1) | instid1(VALU_DEP_1)
	v_add_f64_e32 v[68:69], v[75:76], v[68:69]
	v_fma_f64 v[75:76], v[94:95], s[2:3], -v[116:117]
	v_add_f64_e32 v[73:74], v[75:76], v[73:74]
	v_fma_f64 v[75:76], v[89:90], s[12:13], -v[118:119]
	s_delay_alu instid0(VALU_DEP_1) | instskip(SKIP_1) | instid1(VALU_DEP_1)
	v_add_f64_e32 v[68:69], v[75:76], v[68:69]
	v_fma_f64 v[75:76], v[89:90], s[22:23], -v[120:121]
	v_add_f64_e32 v[73:74], v[75:76], v[73:74]
	v_fma_f64 v[75:76], v[81:82], s[22:23], -v[124:125]
	s_delay_alu instid0(VALU_DEP_1) | instskip(SKIP_1) | instid1(VALU_DEP_1)
	v_add_f64_e32 v[68:69], v[75:76], v[68:69]
	v_fma_f64 v[75:76], v[81:82], s[6:7], -v[126:127]
	v_add_f64_e32 v[73:74], v[75:76], v[73:74]
	v_fma_f64 v[75:76], v[89:90], s[6:7], -v[98:99]
	ds_store_2addr_b64 v71, v[73:74], v[68:69] offset0:56 offset1:63
	v_fma_f64 v[68:69], v[83:84], s[2:3], -v[85:86]
	v_fma_f64 v[73:74], v[94:95], s[12:13], -v[96:97]
	s_delay_alu instid0(VALU_DEP_2) | instskip(NEXT) | instid1(VALU_DEP_1)
	v_add_f64_e32 v[68:69], v[68:69], v[218:219]
	v_add_f64_e32 v[68:69], v[73:74], v[68:69]
	v_fma_f64 v[73:74], v[81:82], s[10:11], -v[100:101]
	s_delay_alu instid0(VALU_DEP_2) | instskip(SKIP_1) | instid1(VALU_DEP_2)
	v_add_f64_e32 v[68:69], v[75:76], v[68:69]
	v_add_f64_e64 v[75:76], v[150:151], -v[158:159]
	v_add_f64_e32 v[68:69], v[73:74], v[68:69]
	v_add_f64_e64 v[73:74], v[148:149], -v[154:155]
	ds_store_b64 v71, v[68:69] offset:560
	v_add_f64_e64 v[70:71], v[170:171], -v[174:175]
	scratch_load_b64 v[174:175], off, off offset:208 th:TH_LOAD_LU ; 8-byte Folded Reload
	v_add_f64_e32 v[77:78], v[228:229], v[122:123]
	v_add_f64_e64 v[68:69], v[166:167], -v[180:181]
	s_wait_loadcnt 0x2
	v_add_f64_e32 v[81:82], v[122:123], v[102:103]
	v_mul_f64_e32 v[96:97], s[14:15], v[73:74]
	v_mul_f64_e32 v[89:90], s[16:17], v[70:71]
	;; [unrolled: 1-line block ×3, first 2 shown]
	s_wait_loadcnt 0x1
	v_add_f64_e32 v[77:78], v[77:78], v[146:147]
	v_mul_f64_e32 v[83:84], s[20:21], v[68:69]
	v_mul_f64_e32 v[124:125], s[30:31], v[70:71]
	v_fma_f64 v[98:99], v[79:80], s[6:7], v[96:97]
	s_delay_alu instid0(VALU_DEP_4) | instskip(NEXT) | instid1(VALU_DEP_4)
	v_add_f64_e32 v[77:78], v[77:78], v[152:153]
	v_fma_f64 v[85:86], v[81:82], s[2:3], v[83:84]
	s_delay_alu instid0(VALU_DEP_2) | instskip(NEXT) | instid1(VALU_DEP_2)
	v_add_f64_e32 v[77:78], v[77:78], v[156:157]
	v_add_f64_e32 v[85:86], v[85:86], v[238:239]
	s_delay_alu instid0(VALU_DEP_2) | instskip(NEXT) | instid1(VALU_DEP_1)
	v_add_f64_e32 v[77:78], v[77:78], v[162:163]
	v_add_f64_e32 v[77:78], v[77:78], v[172:173]
	s_wait_loadcnt 0x0
	v_add_f64_e32 v[87:88], v[146:147], v[174:175]
	s_delay_alu instid0(VALU_DEP_2) | instskip(NEXT) | instid1(VALU_DEP_2)
	v_add_f64_e32 v[77:78], v[77:78], v[174:175]
	v_fma_f64 v[94:95], v[87:88], s[12:13], v[89:90]
	s_delay_alu instid0(VALU_DEP_2) | instskip(SKIP_2) | instid1(VALU_DEP_4)
	v_add_f64_e32 v[77:78], v[77:78], v[102:103]
	v_fma_f64 v[112:113], v[87:88], s[10:11], v[108:109]
	v_fma_f64 v[126:127], v[87:88], s[22:23], v[124:125]
	v_add_f64_e32 v[85:86], v[94:95], v[85:86]
	v_add_f64_e32 v[94:95], v[156:157], v[162:163]
	;; [unrolled: 1-line block ×3, first 2 shown]
	s_delay_alu instid0(VALU_DEP_3) | instskip(SKIP_1) | instid1(VALU_DEP_1)
	v_add_f64_e32 v[85:86], v[98:99], v[85:86]
	v_mul_f64_e32 v[98:99], s[18:19], v[75:76]
	v_fma_f64 v[100:101], v[94:95], s[10:11], v[98:99]
	s_delay_alu instid0(VALU_DEP_1) | instskip(SKIP_4) | instid1(VALU_DEP_2)
	v_add_f64_e32 v[85:86], v[100:101], v[85:86]
	v_mul_f64_e32 v[100:101], s[24:25], v[68:69]
	ds_store_2addr_b64 v72, v[77:78], v[85:86] offset1:7
	v_mul_f64_e32 v[77:78], s[14:15], v[68:69]
	v_fma_f64 v[102:103], v[81:82], s[10:11], v[100:101]
	v_fma_f64 v[85:86], v[81:82], s[6:7], v[77:78]
	s_delay_alu instid0(VALU_DEP_2) | instskip(NEXT) | instid1(VALU_DEP_2)
	v_add_f64_e32 v[102:103], v[102:103], v[236:237]
	v_add_f64_e32 v[85:86], v[85:86], v[234:235]
	s_delay_alu instid0(VALU_DEP_1) | instskip(SKIP_2) | instid1(VALU_DEP_2)
	v_add_f64_e32 v[85:86], v[112:113], v[85:86]
	v_mul_f64_e32 v[112:113], s[26:27], v[70:71]
	v_mul_f64_e32 v[70:71], s[14:15], v[70:71]
	v_fma_f64 v[114:115], v[87:88], s[2:3], v[112:113]
	s_delay_alu instid0(VALU_DEP_1) | instskip(SKIP_1) | instid1(VALU_DEP_1)
	v_add_f64_e32 v[102:103], v[114:115], v[102:103]
	v_mul_f64_e32 v[114:115], s[28:29], v[73:74]
	v_fma_f64 v[116:117], v[79:80], s[12:13], v[114:115]
	s_delay_alu instid0(VALU_DEP_1) | instskip(SKIP_1) | instid1(VALU_DEP_1)
	v_add_f64_e32 v[85:86], v[116:117], v[85:86]
	;; [unrolled: 4-line block ×4, first 2 shown]
	v_mul_f64_e32 v[120:121], s[14:15], v[75:76]
	v_fma_f64 v[122:123], v[94:95], s[6:7], v[120:121]
	s_delay_alu instid0(VALU_DEP_1) | instskip(SKIP_3) | instid1(VALU_DEP_2)
	v_add_f64_e32 v[102:103], v[122:123], v[102:103]
	ds_store_2addr_b64 v72, v[85:86], v[102:103] offset0:14 offset1:21
	v_mul_f64_e32 v[85:86], s[28:29], v[68:69]
	v_mul_f64_e32 v[68:69], s[34:35], v[68:69]
	v_fma_f64 v[102:103], v[81:82], s[12:13], v[85:86]
	s_delay_alu instid0(VALU_DEP_2) | instskip(SKIP_2) | instid1(VALU_DEP_4)
	v_fma_f64 v[122:123], v[81:82], s[22:23], v[68:69]
	v_fma_f64 v[85:86], v[81:82], s[12:13], -v[85:86]
	v_fma_f64 v[68:69], v[81:82], s[22:23], -v[68:69]
	v_add_f64_e32 v[102:103], v[102:103], v[222:223]
	s_delay_alu instid0(VALU_DEP_4) | instskip(NEXT) | instid1(VALU_DEP_4)
	v_add_f64_e32 v[122:123], v[122:123], v[220:221]
	v_add_f64_e32 v[85:86], v[85:86], v[214:215]
	s_delay_alu instid0(VALU_DEP_4) | instskip(NEXT) | instid1(VALU_DEP_4)
	v_add_f64_e32 v[68:69], v[68:69], v[216:217]
	v_add_f64_e32 v[102:103], v[126:127], v[102:103]
	v_fma_f64 v[126:127], v[87:88], s[6:7], v[70:71]
	v_fma_f64 v[70:71], v[87:88], s[6:7], -v[70:71]
	s_delay_alu instid0(VALU_DEP_2) | instskip(SKIP_2) | instid1(VALU_DEP_4)
	v_add_f64_e32 v[122:123], v[126:127], v[122:123]
	v_mul_f64_e32 v[126:127], s[18:19], v[73:74]
	v_mul_f64_e32 v[73:74], s[26:27], v[73:74]
	v_add_f64_e32 v[68:69], v[70:71], v[68:69]
	s_delay_alu instid0(VALU_DEP_3) | instskip(SKIP_1) | instid1(VALU_DEP_2)
	v_fma_f64 v[128:129], v[79:80], s[10:11], v[126:127]
	v_fma_f64 v[70:71], v[79:80], s[10:11], -v[126:127]
	v_add_f64_e32 v[102:103], v[128:129], v[102:103]
	v_fma_f64 v[128:129], v[79:80], s[2:3], v[73:74]
	v_fma_f64 v[73:74], v[79:80], s[2:3], -v[73:74]
	s_delay_alu instid0(VALU_DEP_2) | instskip(SKIP_2) | instid1(VALU_DEP_4)
	v_add_f64_e32 v[122:123], v[128:129], v[122:123]
	v_mul_f64_e32 v[128:129], s[26:27], v[75:76]
	v_mul_f64_e32 v[75:76], s[16:17], v[75:76]
	v_add_f64_e32 v[68:69], v[73:74], v[68:69]
	s_delay_alu instid0(VALU_DEP_3) | instskip(SKIP_1) | instid1(VALU_DEP_2)
	v_fma_f64 v[130:131], v[94:95], s[2:3], v[128:129]
	v_fma_f64 v[73:74], v[94:95], s[2:3], -v[128:129]
	v_add_f64_e32 v[102:103], v[130:131], v[102:103]
	v_fma_f64 v[130:131], v[94:95], s[12:13], v[75:76]
	s_delay_alu instid0(VALU_DEP_1) | instskip(SKIP_2) | instid1(VALU_DEP_1)
	v_add_f64_e32 v[122:123], v[130:131], v[122:123]
	ds_store_2addr_b64 v72, v[102:103], v[122:123] offset0:28 offset1:35
	v_fma_f64 v[102:103], v[87:88], s[22:23], -v[124:125]
	v_add_f64_e32 v[85:86], v[102:103], v[85:86]
	s_delay_alu instid0(VALU_DEP_1) | instskip(NEXT) | instid1(VALU_DEP_1)
	v_add_f64_e32 v[70:71], v[70:71], v[85:86]
	v_add_f64_e32 v[70:71], v[73:74], v[70:71]
	v_fma_f64 v[73:74], v[94:95], s[12:13], -v[75:76]
	s_delay_alu instid0(VALU_DEP_1) | instskip(SKIP_4) | instid1(VALU_DEP_2)
	v_add_f64_e32 v[68:69], v[73:74], v[68:69]
	v_fma_f64 v[73:74], v[87:88], s[10:11], -v[108:109]
	ds_store_2addr_b64 v72, v[68:69], v[70:71] offset0:42 offset1:49
	v_fma_f64 v[68:69], v[81:82], s[6:7], -v[77:78]
	v_fma_f64 v[70:71], v[81:82], s[10:11], -v[100:101]
	v_add_f64_e32 v[68:69], v[68:69], v[110:111]
	s_delay_alu instid0(VALU_DEP_2) | instskip(NEXT) | instid1(VALU_DEP_2)
	v_add_f64_e32 v[70:71], v[70:71], v[212:213]
	v_add_f64_e32 v[68:69], v[73:74], v[68:69]
	v_fma_f64 v[73:74], v[87:88], s[2:3], -v[112:113]
	s_delay_alu instid0(VALU_DEP_1) | instskip(SKIP_1) | instid1(VALU_DEP_1)
	v_add_f64_e32 v[70:71], v[73:74], v[70:71]
	v_fma_f64 v[73:74], v[79:80], s[12:13], -v[114:115]
	v_add_f64_e32 v[68:69], v[73:74], v[68:69]
	v_fma_f64 v[73:74], v[79:80], s[22:23], -v[116:117]
	s_delay_alu instid0(VALU_DEP_1) | instskip(SKIP_1) | instid1(VALU_DEP_1)
	v_add_f64_e32 v[70:71], v[73:74], v[70:71]
	v_fma_f64 v[73:74], v[94:95], s[22:23], -v[118:119]
	v_add_f64_e32 v[68:69], v[73:74], v[68:69]
	v_fma_f64 v[73:74], v[94:95], s[6:7], -v[120:121]
	s_delay_alu instid0(VALU_DEP_1) | instskip(SKIP_3) | instid1(VALU_DEP_2)
	v_add_f64_e32 v[70:71], v[73:74], v[70:71]
	ds_store_2addr_b64 v72, v[70:71], v[68:69] offset0:56 offset1:63
	v_fma_f64 v[68:69], v[81:82], s[2:3], -v[83:84]
	v_fma_f64 v[70:71], v[87:88], s[12:13], -v[89:90]
	v_add_f64_e32 v[68:69], v[68:69], v[106:107]
	s_delay_alu instid0(VALU_DEP_1) | instskip(SKIP_1) | instid1(VALU_DEP_1)
	v_add_f64_e32 v[68:69], v[70:71], v[68:69]
	v_fma_f64 v[70:71], v[79:80], s[6:7], -v[96:97]
	v_add_f64_e32 v[68:69], v[70:71], v[68:69]
	v_fma_f64 v[70:71], v[94:95], s[10:11], -v[98:99]
	s_delay_alu instid0(VALU_DEP_1)
	v_add_f64_e32 v[68:69], v[70:71], v[68:69]
	ds_store_b64 v72, v[68:69] offset:560
	s_and_saveexec_b32 s28, s0
	s_cbranch_execz .LBB0_19
; %bb.18:
	s_clause 0x5
	scratch_load_b64 v[72:73], off, off offset:168 th:TH_LOAD_LU
	scratch_load_b64 v[86:87], off, off offset:120 th:TH_LOAD_LU
	;; [unrolled: 1-line block ×6, first 2 shown]
	s_mov_b32 s22, 0xf8bb580b
	s_mov_b32 s12, 0x43842ef
	;; [unrolled: 1-line block ×20, first 2 shown]
	s_wait_alu 0xfffe
	s_mov_b32 s26, s12
	s_mov_b32 s24, s22
	s_wait_loadcnt 0x5
	v_add_f64_e32 v[68:69], v[92:93], v[72:73]
	s_wait_loadcnt 0x2
	v_add_f64_e64 v[70:71], v[70:71], -v[74:75]
	s_clause 0x7
	scratch_load_b64 v[74:75], off, off offset:144 th:TH_LOAD_LU
	scratch_load_b64 v[76:77], off, off offset:152 th:TH_LOAD_LU
	;; [unrolled: 1-line block ×8, first 2 shown]
	s_wait_loadcnt 0x8
	v_add_f64_e32 v[72:73], v[72:73], v[150:151]
	v_add_f64_e32 v[68:69], v[68:69], v[86:87]
	v_mul_f64_e32 v[78:79], s[10:11], v[70:71]
	v_mul_f64_e32 v[80:81], s[12:13], v[70:71]
	;; [unrolled: 1-line block ×3, first 2 shown]
	s_delay_alu instid0(VALU_DEP_4) | instskip(NEXT) | instid1(VALU_DEP_4)
	v_add_f64_e32 v[68:69], v[68:69], v[112:113]
	v_fma_f64 v[102:103], v[72:73], s[0:1], v[78:79]
	v_fma_f64 v[78:79], v[72:73], s[0:1], -v[78:79]
	v_fma_f64 v[106:107], v[72:73], s[2:3], v[80:81]
	v_fma_f64 v[108:109], v[72:73], s[16:17], v[82:83]
	v_fma_f64 v[82:83], v[72:73], s[16:17], -v[82:83]
	v_fma_f64 v[80:81], v[72:73], s[2:3], -v[80:81]
	v_add_f64_e32 v[78:79], v[92:93], v[78:79]
	s_delay_alu instid0(VALU_DEP_3) | instskip(NEXT) | instid1(VALU_DEP_3)
	v_add_f64_e32 v[82:83], v[92:93], v[82:83]
	v_add_f64_e32 v[80:81], v[92:93], v[80:81]
	s_wait_loadcnt 0x6
	v_add_f64_e64 v[74:75], v[74:75], -v[76:77]
	v_mul_f64_e32 v[76:77], s[22:23], v[70:71]
	v_mul_f64_e32 v[70:71], s[18:19], v[70:71]
	s_wait_loadcnt 0x3
	v_add_f64_e64 v[84:85], v[84:85], -v[88:89]
	s_wait_loadcnt 0x2
	v_add_f64_e32 v[86:87], v[86:87], v[152:153]
	v_add_f64_e32 v[68:69], v[68:69], v[132:133]
	v_mul_f64_e32 v[88:89], s[10:11], v[74:75]
	v_fma_f64 v[100:101], v[72:73], s[6:7], v[76:77]
	v_fma_f64 v[110:111], v[72:73], s[20:21], v[70:71]
	v_fma_f64 v[70:71], v[72:73], s[20:21], -v[70:71]
	v_fma_f64 v[72:73], v[72:73], s[6:7], -v[76:77]
	s_wait_loadcnt 0x1
	v_add_f64_e32 v[76:77], v[112:113], v[154:155]
	s_clause 0x3
	scratch_load_b64 v[112:113], off, off offset:96 th:TH_LOAD_LU
	scratch_load_b64 v[114:115], off, off offset:104 th:TH_LOAD_LU
	;; [unrolled: 1-line block ×4, first 2 shown]
	v_mul_f64_e32 v[94:95], s[14:15], v[74:75]
	v_mul_f64_e32 v[96:97], s[30:31], v[74:75]
	s_wait_alu 0xfffe
	v_mul_f64_e32 v[98:99], s[26:27], v[74:75]
	v_mul_f64_e32 v[74:75], s[24:25], v[74:75]
	s_wait_loadcnt 0x4
	v_add_f64_e32 v[68:69], v[68:69], v[156:157]
	s_mov_b32 s11, 0x3fed1bb4
	v_mul_f64_e32 v[116:117], s[30:31], v[84:85]
	v_mul_f64_e32 v[118:119], s[22:23], v[84:85]
	;; [unrolled: 1-line block ×3, first 2 shown]
	v_fma_f64 v[122:123], v[86:87], s[0:1], v[88:89]
	v_fma_f64 v[88:89], v[86:87], s[0:1], -v[88:89]
	v_add_f64_e32 v[70:71], v[92:93], v[70:71]
	v_add_f64_e32 v[72:73], v[92:93], v[72:73]
	v_fma_f64 v[124:125], v[86:87], s[16:17], v[94:95]
	v_fma_f64 v[94:95], v[86:87], s[16:17], -v[94:95]
	v_fma_f64 v[126:127], v[86:87], s[20:21], v[96:97]
	v_fma_f64 v[96:97], v[86:87], s[20:21], -v[96:97]
	;; [unrolled: 2-line block ×4, first 2 shown]
	v_add_f64_e32 v[86:87], v[92:93], v[100:101]
	v_add_f64_e32 v[100:101], v[92:93], v[102:103]
	;; [unrolled: 1-line block ×5, first 2 shown]
	v_fma_f64 v[142:143], v[76:77], s[20:21], v[116:117]
	v_fma_f64 v[116:117], v[76:77], s[20:21], -v[116:117]
	v_fma_f64 v[144:145], v[76:77], s[6:7], v[118:119]
	v_fma_f64 v[118:119], v[76:77], s[6:7], -v[118:119]
	v_fma_f64 v[146:147], v[76:77], s[16:17], v[120:121]
	v_fma_f64 v[120:121], v[76:77], s[16:17], -v[120:121]
	v_add_f64_e32 v[72:73], v[88:89], v[72:73]
	v_add_f64_e32 v[78:79], v[94:95], v[78:79]
	v_add_f64_e32 v[82:83], v[98:99], v[82:83]
	v_add_f64_e32 v[70:71], v[74:75], v[70:71]
	v_add_f64_e32 v[74:75], v[96:97], v[80:81]
	v_add_f64_e32 v[94:95], v[126:127], v[102:103]
	v_add_f64_e32 v[98:99], v[130:131], v[108:109]
	v_add_f64_e32 v[78:79], v[116:117], v[78:79]
	v_add_f64_e32 v[82:83], v[118:119], v[82:83]
	v_add_f64_e32 v[70:71], v[120:121], v[70:71]
	s_delay_alu instid0(VALU_DEP_4)
	v_add_f64_e32 v[98:99], v[146:147], v[98:99]
	s_wait_loadcnt 0x2
	v_add_f64_e64 v[112:113], v[112:113], -v[114:115]
	v_mul_f64_e32 v[114:115], s[12:13], v[84:85]
	s_wait_loadcnt 0x0
	v_add_f64_e32 v[92:93], v[132:133], v[160:161]
	s_clause 0x1
	scratch_load_b64 v[110:111], off, off offset:72 th:TH_LOAD_LU
	scratch_load_b64 v[132:133], off, off offset:80 th:TH_LOAD_LU
	s_wait_alu 0xfffe
	v_mul_f64_e32 v[84:85], s[10:11], v[84:85]
	v_add_f64_e32 v[68:69], v[68:69], v[158:159]
	v_add_f64_e32 v[80:81], v[156:157], v[158:159]
	v_mul_f64_e32 v[134:135], s[26:27], v[112:113]
	v_mul_f64_e32 v[136:137], s[22:23], v[112:113]
	v_fma_f64 v[140:141], v[76:77], s[2:3], v[114:115]
	v_fma_f64 v[114:115], v[76:77], s[2:3], -v[114:115]
	v_fma_f64 v[148:149], v[76:77], s[0:1], v[84:85]
	v_fma_f64 v[76:77], v[76:77], s[0:1], -v[84:85]
	v_add_f64_e32 v[84:85], v[122:123], v[86:87]
	v_add_f64_e32 v[86:87], v[124:125], v[100:101]
	v_mul_f64_e32 v[138:139], s[18:19], v[112:113]
	v_add_f64_e32 v[100:101], v[128:129], v[106:107]
	v_add_f64_e32 v[68:69], v[68:69], v[160:161]
	v_fma_f64 v[124:125], v[92:93], s[2:3], v[134:135]
	v_fma_f64 v[128:129], v[92:93], s[6:7], v[136:137]
	v_fma_f64 v[126:127], v[92:93], s[2:3], -v[134:135]
	v_fma_f64 v[130:131], v[92:93], s[6:7], -v[136:137]
	v_add_f64_e32 v[94:95], v[148:149], v[94:95]
	v_add_f64_e32 v[74:75], v[76:77], v[74:75]
	;; [unrolled: 1-line block ×4, first 2 shown]
	v_fma_f64 v[134:135], v[92:93], s[20:21], -v[138:139]
	v_add_f64_e32 v[100:101], v[144:145], v[100:101]
	v_add_f64_e32 v[68:69], v[68:69], v[154:155]
	;; [unrolled: 1-line block ×9, first 2 shown]
	s_delay_alu instid0(VALU_DEP_1) | instskip(SKIP_4) | instid1(VALU_DEP_3)
	v_add_f64_e32 v[68:69], v[68:69], v[150:151]
	s_wait_loadcnt 0x0
	v_add_f64_e64 v[110:111], v[110:111], -v[132:133]
	v_mul_f64_e32 v[132:133], s[14:15], v[112:113]
	v_mul_f64_e32 v[112:113], s[10:11], v[112:113]
	;; [unrolled: 1-line block ×7, first 2 shown]
	v_fma_f64 v[110:111], v[92:93], s[16:17], v[132:133]
	v_fma_f64 v[122:123], v[92:93], s[16:17], -v[132:133]
	v_fma_f64 v[132:133], v[92:93], s[20:21], v[138:139]
	v_fma_f64 v[136:137], v[92:93], s[0:1], v[112:113]
	v_fma_f64 v[92:93], v[92:93], s[0:1], -v[112:113]
	v_fma_f64 v[76:77], v[80:81], s[20:21], v[88:89]
	v_fma_f64 v[112:113], v[80:81], s[6:7], v[96:97]
	;; [unrolled: 1-line block ×3, first 2 shown]
	v_fma_f64 v[88:89], v[80:81], s[20:21], -v[88:89]
	v_fma_f64 v[96:97], v[80:81], s[6:7], -v[96:97]
	v_add_f64_e32 v[84:85], v[110:111], v[84:85]
	v_fma_f64 v[102:103], v[80:81], s[16:17], -v[102:103]
	v_fma_f64 v[116:117], v[80:81], s[2:3], v[106:107]
	v_fma_f64 v[106:107], v[80:81], s[2:3], -v[106:107]
	v_fma_f64 v[118:119], v[80:81], s[0:1], v[108:109]
	v_fma_f64 v[80:81], v[80:81], s[0:1], -v[108:109]
	v_add_f64_e32 v[100:101], v[132:133], v[100:101]
	v_add_f64_e32 v[98:99], v[136:137], v[98:99]
	;; [unrolled: 1-line block ×14, first 2 shown]
	v_mul_u32_u24_e32 v88, 0x268, v227
	s_delay_alu instid0(VALU_DEP_1)
	v_add3_u32 v88, 0, v88, v91
	ds_store_2addr_b64 v88, v[84:85], v[86:87] offset0:14 offset1:21
	ds_store_2addr_b64 v88, v[92:93], v[82:83] offset0:28 offset1:35
	ds_store_2addr_b64 v88, v[70:71], v[80:81] offset0:42 offset1:49
	ds_store_2addr_b64 v88, v[74:75], v[78:79] offset0:56 offset1:63
	ds_store_2addr_b64 v88, v[68:69], v[76:77] offset1:7
	ds_store_b64 v88, v[72:73] offset:560
.LBB0_19:
	s_wait_alu 0xfffe
	s_or_b32 exec_lo, exec_lo, s28
	v_dual_mov_b32 v226, 0 :: v_dual_lshlrev_b32 v225, 2, v224
	global_wb scope:SCOPE_SE
	s_wait_dscnt 0x0
	s_barrier_signal -1
	s_barrier_wait -1
	global_inv scope:SCOPE_SE
	v_lshlrev_b64_e32 v[68:69], 4, v[225:226]
	ds_load_2addr_b64 v[79:82], v202 offset0:2 offset1:57
	v_add_nc_u32_e32 v222, 55, v224
	v_add_nc_u32_e32 v223, 0x6e, v224
	;; [unrolled: 1-line block ×4, first 2 shown]
	v_add_co_u32 v75, s0, s4, v68
	s_wait_alu 0xf1ff
	v_add_co_ci_u32_e64 v76, s0, s5, v69, s0
	v_cmp_gt_u32_e64 s0, 22, v224
	v_add_nc_u32_e32 v184, 0x14a, v224
	s_mov_b32 s6, 0x134454ff
	s_clause 0x1
	global_load_b128 v[68:71], v[75:76], off offset:1136
	global_load_b128 v[187:190], v[75:76], off offset:1120
	s_mov_b32 s7, 0x3fee6f0e
	s_mov_b32 s2, 0x4755a5e
	;; [unrolled: 1-line block ×6, first 2 shown]
	s_wait_alu 0xfffe
	s_mov_b32 s14, s6
	s_mov_b32 s13, 0xbfe2cf23
	;; [unrolled: 1-line block ×3, first 2 shown]
	s_wait_loadcnt_dscnt 0x100
	v_mul_f64_e32 v[72:73], v[79:80], v[70:71]
	s_delay_alu instid0(VALU_DEP_1) | instskip(SKIP_1) | instid1(VALU_DEP_1)
	v_fma_f64 v[77:78], v[64:65], v[68:69], -v[72:73]
	v_mul_f64_e32 v[64:65], v[64:65], v[70:71]
	v_fma_f64 v[138:139], v[79:80], v[68:69], v[64:65]
	v_subrev_nc_u32_e32 v64, 22, v224
	s_delay_alu instid0(VALU_DEP_1) | instskip(NEXT) | instid1(VALU_DEP_1)
	v_cndmask_b32_e64 v68, v64, v222, s0
	v_lshlrev_b32_e32 v225, 2, v68
	s_delay_alu instid0(VALU_DEP_1) | instskip(NEXT) | instid1(VALU_DEP_1)
	v_lshlrev_b64_e32 v[64:65], 4, v[225:226]
	v_add_co_u32 v87, s0, s4, v64
	s_wait_alu 0xf1ff
	s_delay_alu instid0(VALU_DEP_2)
	v_add_co_ci_u32_e64 v88, s0, s5, v65, s0
	s_clause 0x1
	global_load_b128 v[69:72], v[87:88], off offset:1136
	global_load_b128 v[83:86], v[87:88], off offset:1120
	v_cmp_lt_u32_e64 s0, 21, v224
	global_load_b128 v[180:183], v[75:76], off offset:1152
	s_wait_loadcnt 0x2
	v_mul_f64_e32 v[64:65], v[81:82], v[71:72]
	s_delay_alu instid0(VALU_DEP_1) | instskip(SKIP_1) | instid1(VALU_DEP_1)
	v_fma_f64 v[118:119], v[66:67], v[69:70], -v[64:65]
	v_mul_f64_e32 v[64:65], v[66:67], v[71:72]
	v_fma_f64 v[91:92], v[81:82], v[69:70], v[64:65]
	global_load_b128 v[69:72], v[75:76], off offset:1168
	ds_load_2addr_b64 v[79:82], v204 offset0:4 offset1:59
	s_wait_loadcnt_dscnt 0x0
	v_mul_f64_e32 v[64:65], v[79:80], v[71:72]
	s_delay_alu instid0(VALU_DEP_1) | instskip(SKIP_1) | instid1(VALU_DEP_1)
	v_fma_f64 v[64:65], v[60:61], v[69:70], -v[64:65]
	v_mul_f64_e32 v[60:61], v[60:61], v[71:72]
	v_fma_f64 v[168:169], v[79:80], v[69:70], v[60:61]
	s_clause 0x1
	global_load_b128 v[69:72], v[87:88], off offset:1168
	global_load_b128 v[93:96], v[87:88], off offset:1152
	s_wait_loadcnt 0x1
	v_mul_f64_e32 v[60:61], v[81:82], v[71:72]
	s_delay_alu instid0(VALU_DEP_1) | instskip(SKIP_1) | instid1(VALU_DEP_1)
	v_fma_f64 v[146:147], v[62:63], v[69:70], -v[60:61]
	v_mul_f64_e32 v[60:61], v[62:63], v[71:72]
	v_fma_f64 v[120:121], v[81:82], v[69:70], v[60:61]
	ds_load_2addr_b64 v[60:63], v203 offset0:184 offset1:239
	s_wait_dscnt 0x0
	v_mul_f64_e32 v[66:67], v[60:61], v[85:86]
	s_delay_alu instid0(VALU_DEP_1) | instskip(SKIP_1) | instid1(VALU_DEP_1)
	v_fma_f64 v[154:155], v[56:57], v[83:84], -v[66:67]
	v_mul_f64_e32 v[56:57], v[56:57], v[85:86]
	v_fma_f64 v[136:137], v[60:61], v[83:84], v[56:57]
	scratch_load_b32 v56, off, off offset:16 th:TH_LOAD_LU ; 4-byte Folded Reload
	s_wait_loadcnt 0x0
	v_mul_lo_u16 v56, 0xd5, v56
	s_delay_alu instid0(VALU_DEP_1) | instskip(NEXT) | instid1(VALU_DEP_1)
	v_lshrrev_b16 v60, 14, v56
	v_mul_lo_u16 v56, 0x4d, v60
	s_delay_alu instid0(VALU_DEP_1) | instskip(NEXT) | instid1(VALU_DEP_1)
	v_sub_nc_u16 v56, v223, v56
	v_and_b32_e32 v61, 0xff, v56
	s_delay_alu instid0(VALU_DEP_1)
	v_lshlrev_b32_e32 v66, 6, v61
	s_clause 0x1
	global_load_b128 v[69:72], v66, s[4:5] offset:1120
	global_load_b128 v[79:82], v66, s[4:5] offset:1136
	s_wait_loadcnt 0x1
	v_mul_f64_e32 v[56:57], v[62:63], v[71:72]
	s_delay_alu instid0(VALU_DEP_1) | instskip(SKIP_1) | instid1(VALU_DEP_1)
	v_fma_f64 v[126:127], v[58:59], v[69:70], -v[56:57]
	v_mul_f64_e32 v[56:57], v[58:59], v[71:72]
	v_fma_f64 v[87:88], v[62:63], v[69:70], v[56:57]
	ds_load_2addr_b64 v[56:59], v205 offset0:186 offset1:241
	s_wait_dscnt 0x0
	v_mul_f64_e32 v[62:63], v[56:57], v[95:96]
	s_delay_alu instid0(VALU_DEP_1) | instskip(SKIP_1) | instid1(VALU_DEP_1)
	v_fma_f64 v[178:179], v[52:53], v[93:94], -v[62:63]
	v_mul_f64_e32 v[52:53], v[52:53], v[95:96]
	v_fma_f64 v[164:165], v[56:57], v[93:94], v[52:53]
	s_clause 0x1
	global_load_b128 v[69:72], v66, s[4:5] offset:1152
	global_load_b128 v[93:96], v66, s[4:5] offset:1168
	s_wait_loadcnt 0x1
	v_mul_f64_e32 v[52:53], v[58:59], v[71:72]
	s_delay_alu instid0(VALU_DEP_1) | instskip(SKIP_1) | instid1(VALU_DEP_1)
	v_fma_f64 v[150:151], v[54:55], v[69:70], -v[52:53]
	v_mul_f64_e32 v[52:53], v[54:55], v[71:72]
	v_fma_f64 v[114:115], v[58:59], v[69:70], v[52:53]
	ds_load_2addr_b64 v[52:55], v202 offset0:112 offset1:167
	s_wait_dscnt 0x0
	v_mul_f64_e32 v[56:57], v[52:53], v[81:82]
	s_delay_alu instid0(VALU_DEP_1) | instskip(SKIP_1) | instid1(VALU_DEP_1)
	v_fma_f64 v[156:157], v[48:49], v[79:80], -v[56:57]
	v_mul_f64_e32 v[48:49], v[48:49], v[81:82]
	v_fma_f64 v[134:135], v[52:53], v[79:80], v[48:49]
	v_and_b32_e32 v48, 0xff, v255
	s_delay_alu instid0(VALU_DEP_1) | instskip(NEXT) | instid1(VALU_DEP_1)
	v_mul_lo_u16 v48, 0xd5, v48
	v_lshrrev_b16 v48, 14, v48
	s_delay_alu instid0(VALU_DEP_1) | instskip(NEXT) | instid1(VALU_DEP_1)
	v_mul_lo_u16 v48, 0x4d, v48
	v_sub_nc_u16 v48, v255, v48
	s_delay_alu instid0(VALU_DEP_1) | instskip(NEXT) | instid1(VALU_DEP_1)
	v_and_b32_e32 v48, 0xff, v48
	v_lshlrev_b32_e32 v62, 6, v48
	s_clause 0x1
	global_load_b128 v[56:59], v62, s[4:5] offset:1136
	global_load_b128 v[69:72], v62, s[4:5] offset:1120
	v_lshl_add_u32 v201, v48, 3, 0
	s_delay_alu instid0(VALU_DEP_1) | instskip(SKIP_2) | instid1(VALU_DEP_1)
	v_add_nc_u32_e32 v217, 0x1800, v201
	s_wait_loadcnt 0x1
	v_mul_f64_e32 v[52:53], v[54:55], v[58:59]
	v_fma_f64 v[99:100], v[50:51], v[56:57], -v[52:53]
	v_mul_f64_e32 v[49:50], v[50:51], v[58:59]
	s_delay_alu instid0(VALU_DEP_1) | instskip(SKIP_3) | instid1(VALU_DEP_1)
	v_fma_f64 v[85:86], v[54:55], v[56:57], v[49:50]
	ds_load_2addr_b64 v[49:52], v204 offset0:114 offset1:169
	s_wait_dscnt 0x0
	v_mul_f64_e32 v[53:54], v[49:50], v[95:96]
	v_fma_f64 v[176:177], v[44:45], v[93:94], -v[53:54]
	s_clause 0x1
	global_load_b128 v[53:56], v62, s[4:5] offset:1168
	global_load_b128 v[79:82], v62, s[4:5] offset:1152
	v_mul_f64_e32 v[44:45], v[44:45], v[95:96]
	s_delay_alu instid0(VALU_DEP_1) | instskip(SKIP_2) | instid1(VALU_DEP_1)
	v_fma_f64 v[162:163], v[49:50], v[93:94], v[44:45]
	s_wait_loadcnt 0x1
	v_mul_f64_e32 v[44:45], v[51:52], v[55:56]
	v_fma_f64 v[130:131], v[46:47], v[53:54], -v[44:45]
	v_mul_f64_e32 v[44:45], v[46:47], v[55:56]
	s_delay_alu instid0(VALU_DEP_1) | instskip(SKIP_3) | instid1(VALU_DEP_1)
	v_fma_f64 v[101:102], v[51:52], v[53:54], v[44:45]
	ds_load_2addr_b64 v[44:47], v206 offset0:38 offset1:93
	s_wait_dscnt 0x0
	v_mul_f64_e32 v[49:50], v[44:45], v[71:72]
	v_fma_f64 v[142:143], v[40:41], v[69:70], -v[49:50]
	v_mul_f64_e32 v[40:41], v[40:41], v[71:72]
	s_delay_alu instid0(VALU_DEP_1) | instskip(SKIP_1) | instid1(VALU_DEP_1)
	v_fma_f64 v[122:123], v[44:45], v[69:70], v[40:41]
	v_and_b32_e32 v40, 0xffff, v185
	v_mul_u32_u24_e32 v40, 0x1a99, v40
	s_delay_alu instid0(VALU_DEP_1) | instskip(NEXT) | instid1(VALU_DEP_1)
	v_lshrrev_b32_e32 v40, 19, v40
	v_mul_lo_u16 v41, 0x4d, v40
	s_delay_alu instid0(VALU_DEP_1) | instskip(NEXT) | instid1(VALU_DEP_1)
	v_sub_nc_u16 v41, v185, v41
	v_and_b32_e32 v41, 0xffff, v41
	s_delay_alu instid0(VALU_DEP_1)
	v_lshlrev_b32_e32 v57, 6, v41
	s_clause 0x1
	global_load_b128 v[49:52], v57, s[4:5] offset:1120
	global_load_b128 v[53:56], v57, s[4:5] offset:1136
	s_wait_loadcnt 0x1
	v_mul_f64_e32 v[44:45], v[46:47], v[51:52]
	s_delay_alu instid0(VALU_DEP_1) | instskip(SKIP_1) | instid1(VALU_DEP_1)
	v_fma_f64 v[108:109], v[42:43], v[49:50], -v[44:45]
	v_mul_f64_e32 v[42:43], v[42:43], v[51:52]
	v_fma_f64 v[83:84], v[46:47], v[49:50], v[42:43]
	ds_load_2addr_b64 v[42:45], v207 offset0:40 offset1:95
	s_clause 0x1
	global_load_b128 v[49:52], v57, s[4:5] offset:1152
	global_load_b128 v[69:72], v57, s[4:5] offset:1168
	s_wait_dscnt 0x0
	v_mul_f64_e32 v[46:47], v[42:43], v[81:82]
	s_delay_alu instid0(VALU_DEP_1) | instskip(SKIP_1) | instid1(VALU_DEP_1)
	v_fma_f64 v[170:171], v[36:37], v[79:80], -v[46:47]
	v_mul_f64_e32 v[36:37], v[36:37], v[81:82]
	v_fma_f64 v[158:159], v[42:43], v[79:80], v[36:37]
	s_wait_loadcnt 0x1
	v_mul_f64_e32 v[36:37], v[44:45], v[51:52]
	s_delay_alu instid0(VALU_DEP_1) | instskip(SKIP_1) | instid1(VALU_DEP_1)
	v_fma_f64 v[144:145], v[38:39], v[49:50], -v[36:37]
	v_mul_f64_e32 v[36:37], v[38:39], v[51:52]
	v_fma_f64 v[106:107], v[44:45], v[49:50], v[36:37]
	ds_load_2addr_b64 v[36:39], v209 offset0:94 offset1:149
	s_wait_dscnt 0x0
	v_mul_f64_e32 v[42:43], v[36:37], v[55:56]
	s_delay_alu instid0(VALU_DEP_1) | instskip(SKIP_1) | instid1(VALU_DEP_1)
	v_fma_f64 v[152:153], v[32:33], v[53:54], -v[42:43]
	v_mul_f64_e32 v[32:33], v[32:33], v[55:56]
	v_fma_f64 v[128:129], v[36:37], v[53:54], v[32:33]
	v_and_b32_e32 v32, 0xffff, v186
	s_delay_alu instid0(VALU_DEP_1) | instskip(NEXT) | instid1(VALU_DEP_1)
	v_mul_u32_u24_e32 v32, 0x1a99, v32
	v_lshrrev_b32_e32 v32, 19, v32
	s_delay_alu instid0(VALU_DEP_1) | instskip(NEXT) | instid1(VALU_DEP_1)
	v_mul_lo_u16 v33, 0x4d, v32
	v_sub_nc_u16 v33, v186, v33
	s_delay_alu instid0(VALU_DEP_1) | instskip(NEXT) | instid1(VALU_DEP_1)
	v_and_b32_e32 v33, 0xffff, v33
	v_lshlrev_b32_e32 v46, 6, v33
	s_clause 0x1
	global_load_b128 v[42:45], v46, s[4:5] offset:1136
	global_load_b128 v[49:52], v46, s[4:5] offset:1120
	s_wait_loadcnt 0x1
	v_mul_f64_e32 v[36:37], v[38:39], v[44:45]
	s_delay_alu instid0(VALU_DEP_1) | instskip(SKIP_1) | instid1(VALU_DEP_1)
	v_fma_f64 v[93:94], v[34:35], v[42:43], -v[36:37]
	v_mul_f64_e32 v[34:35], v[34:35], v[44:45]
	v_fma_f64 v[81:82], v[38:39], v[42:43], v[34:35]
	ds_load_2addr_b64 v[34:37], v210 offset0:96 offset1:151
	s_clause 0x1
	global_load_b128 v[42:45], v46, s[4:5] offset:1168
	global_load_b128 v[53:56], v46, s[4:5] offset:1152
	s_wait_dscnt 0x0
	v_mul_f64_e32 v[38:39], v[34:35], v[71:72]
	s_delay_alu instid0(VALU_DEP_1) | instskip(SKIP_1) | instid1(VALU_DEP_1)
	v_fma_f64 v[172:173], v[28:29], v[69:70], -v[38:39]
	v_mul_f64_e32 v[28:29], v[28:29], v[71:72]
	v_fma_f64 v[160:161], v[34:35], v[69:70], v[28:29]
	s_wait_loadcnt 0x1
	v_mul_f64_e32 v[28:29], v[36:37], v[44:45]
	s_delay_alu instid0(VALU_DEP_1) | instskip(SKIP_1) | instid1(VALU_DEP_1)
	v_fma_f64 v[116:117], v[30:31], v[42:43], -v[28:29]
	v_mul_f64_e32 v[28:29], v[30:31], v[44:45]
	v_fma_f64 v[97:98], v[36:37], v[42:43], v[28:29]
	ds_load_2addr_b64 v[28:31], v206 offset0:148 offset1:203
	s_wait_dscnt 0x0
	v_mul_f64_e32 v[34:35], v[28:29], v[51:52]
	s_delay_alu instid0(VALU_DEP_1) | instskip(SKIP_1) | instid1(VALU_DEP_1)
	v_fma_f64 v[132:133], v[24:25], v[49:50], -v[34:35]
	v_mul_f64_e32 v[24:25], v[24:25], v[51:52]
	v_fma_f64 v[112:113], v[28:29], v[49:50], v[24:25]
	v_and_b32_e32 v24, 0xffff, v184
	s_delay_alu instid0(VALU_DEP_1) | instskip(NEXT) | instid1(VALU_DEP_1)
	v_mul_u32_u24_e32 v24, 0x1a99, v24
	v_lshrrev_b32_e32 v24, 19, v24
	s_delay_alu instid0(VALU_DEP_1) | instskip(NEXT) | instid1(VALU_DEP_1)
	v_mul_lo_u16 v24, 0x4d, v24
	v_sub_nc_u16 v24, v184, v24
	s_delay_alu instid0(VALU_DEP_1) | instskip(NEXT) | instid1(VALU_DEP_1)
	v_and_b32_e32 v28, 0xffff, v24
	v_lshlrev_b32_e32 v29, 6, v28
	s_clause 0x1
	global_load_b128 v[34:37], v29, s[4:5] offset:1120
	global_load_b128 v[42:45], v29, s[4:5] offset:1136
	v_lshl_add_u32 v220, v28, 3, 0
	s_delay_alu instid0(VALU_DEP_1) | instskip(SKIP_2) | instid1(VALU_DEP_1)
	v_add_nc_u32_e32 v221, 0x3000, v220
	s_wait_loadcnt 0x1
	v_mul_f64_e32 v[24:25], v[30:31], v[36:37]
	v_fma_f64 v[89:90], v[26:27], v[34:35], -v[24:25]
	v_mul_f64_e32 v[24:25], v[26:27], v[36:37]
	s_delay_alu instid0(VALU_DEP_1) | instskip(SKIP_3) | instid1(VALU_DEP_1)
	v_fma_f64 v[79:80], v[30:31], v[34:35], v[24:25]
	ds_load_2addr_b64 v[34:37], v205 offset0:76 offset1:131
	s_wait_dscnt 0x0
	v_mul_f64_e32 v[24:25], v[36:37], v[182:183]
	v_fma_f64 v[24:25], v[18:19], v[180:181], -v[24:25]
	v_mul_f64_e32 v[18:19], v[18:19], v[182:183]
	s_delay_alu instid0(VALU_DEP_2) | instskip(NEXT) | instid1(VALU_DEP_2)
	v_add_f64_e64 v[195:196], v[77:78], -v[24:25]
	v_fma_f64 v[180:181], v[36:37], v[180:181], v[18:19]
	s_wait_loadcnt 0x0
	v_mul_f64_e32 v[18:19], v[34:35], v[44:45]
	s_delay_alu instid0(VALU_DEP_1) | instskip(SKIP_1) | instid1(VALU_DEP_1)
	v_fma_f64 v[110:111], v[16:17], v[42:43], -v[18:19]
	v_mul_f64_e32 v[16:17], v[16:17], v[44:45]
	v_fma_f64 v[95:96], v[34:35], v[42:43], v[16:17]
	ds_load_2addr_b64 v[16:19], v207 offset0:150 offset1:205
	s_clause 0x1
	global_load_b128 v[34:37], v29, s[4:5] offset:1152
	global_load_b128 v[42:45], v29, s[4:5] offset:1168
	s_wait_dscnt 0x0
	v_mul_f64_e32 v[26:27], v[16:17], v[55:56]
	s_delay_alu instid0(VALU_DEP_1)
	v_fma_f64 v[174:175], v[20:21], v[53:54], -v[26:27]
	v_mul_f64_e32 v[20:21], v[20:21], v[55:56]
	ds_load_2addr_b64 v[56:59], v203 offset0:74 offset1:129
	v_add_f64_e64 v[26:27], v[138:139], -v[180:181]
	v_fma_f64 v[166:167], v[16:17], v[53:54], v[20:21]
	v_add_f64_e32 v[20:21], v[77:78], v[24:25]
	s_delay_alu instid0(VALU_DEP_1) | instskip(SKIP_2) | instid1(VALU_DEP_1)
	v_fma_f64 v[20:21], v[20:21], -0.5, v[12:13]
	s_wait_loadcnt 0x1
	v_mul_f64_e32 v[16:17], v[18:19], v[36:37]
	v_fma_f64 v[140:141], v[22:23], v[34:35], -v[16:17]
	v_mul_f64_e32 v[16:17], v[22:23], v[36:37]
	s_delay_alu instid0(VALU_DEP_1) | instskip(SKIP_3) | instid1(VALU_DEP_1)
	v_fma_f64 v[124:125], v[18:19], v[34:35], v[16:17]
	ds_load_b64 v[16:17], v254 offset:14960
	s_wait_loadcnt_dscnt 0x0
	v_mul_f64_e32 v[18:19], v[16:17], v[44:45]
	v_fma_f64 v[148:149], v[104:105], v[42:43], -v[18:19]
	v_mul_f64_e32 v[18:19], v[104:105], v[44:45]
	s_delay_alu instid0(VALU_DEP_1) | instskip(SKIP_2) | instid1(VALU_DEP_2)
	v_fma_f64 v[103:104], v[16:17], v[42:43], v[18:19]
	v_mul_f64_e32 v[16:17], v[58:59], v[189:190]
	v_add_f64_e64 v[18:19], v[64:65], -v[24:25]
	v_fma_f64 v[16:17], v[2:3], v[187:188], -v[16:17]
	v_mul_f64_e32 v[2:3], v[2:3], v[189:190]
	s_delay_alu instid0(VALU_DEP_2) | instskip(NEXT) | instid1(VALU_DEP_2)
	v_add_f64_e64 v[197:198], v[16:17], -v[64:65]
	v_fma_f64 v[182:183], v[58:59], v[187:188], v[2:3]
	v_add_f64_e64 v[2:3], v[16:17], -v[77:78]
	ds_load_2addr_b64 v[187:190], v254 offset1:55
	ds_load_2addr_b64 v[191:194], v254 offset0:110 offset1:165
	ds_load_2addr_b64 v[70:73], v208 offset0:92 offset1:147
	global_wb scope:SCOPE_SE
	s_wait_dscnt 0x0
	s_barrier_signal -1
	s_barrier_wait -1
	global_inv scope:SCOPE_SE
	v_add_f64_e64 v[22:23], v[182:183], -v[168:169]
	v_add_f64_e32 v[2:3], v[2:3], v[18:19]
	v_add_f64_e32 v[18:19], v[12:13], v[16:17]
	s_delay_alu instid0(VALU_DEP_3) | instskip(NEXT) | instid1(VALU_DEP_2)
	v_fma_f64 v[29:30], v[22:23], s[6:7], v[20:21]
	v_add_f64_e32 v[18:19], v[18:19], v[77:78]
	s_delay_alu instid0(VALU_DEP_2) | instskip(NEXT) | instid1(VALU_DEP_2)
	v_fma_f64 v[29:30], v[26:27], s[2:3], v[29:30]
	v_add_f64_e32 v[18:19], v[18:19], v[24:25]
	s_delay_alu instid0(VALU_DEP_2) | instskip(NEXT) | instid1(VALU_DEP_2)
	v_fma_f64 v[29:30], v[2:3], s[10:11], v[29:30]
	v_add_f64_e32 v[18:19], v[18:19], v[64:65]
	ds_store_2addr_b64 v254, v[18:19], v[29:30] offset1:77
	v_add_f64_e64 v[18:19], v[77:78], -v[16:17]
	v_add_f64_e64 v[29:30], v[24:25], -v[64:65]
	s_delay_alu instid0(VALU_DEP_1) | instskip(SKIP_1) | instid1(VALU_DEP_1)
	v_add_f64_e32 v[18:19], v[18:19], v[29:30]
	v_add_f64_e32 v[29:30], v[16:17], v[64:65]
	v_fma_f64 v[12:13], v[29:30], -0.5, v[12:13]
	s_wait_alu 0xfffe
	s_delay_alu instid0(VALU_DEP_1) | instskip(SKIP_1) | instid1(VALU_DEP_2)
	v_fma_f64 v[29:30], v[26:27], s[14:15], v[12:13]
	v_fma_f64 v[12:13], v[26:27], s[6:7], v[12:13]
	;; [unrolled: 1-line block ×3, first 2 shown]
	s_delay_alu instid0(VALU_DEP_2) | instskip(NEXT) | instid1(VALU_DEP_2)
	v_fma_f64 v[12:13], v[22:23], s[12:13], v[12:13]
	v_fma_f64 v[29:30], v[18:19], s[10:11], v[29:30]
	s_delay_alu instid0(VALU_DEP_2)
	v_fma_f64 v[12:13], v[18:19], s[10:11], v[12:13]
	v_add_f64_e32 v[18:19], v[118:119], v[178:179]
	ds_store_2addr_b64 v254, v[29:30], v[12:13] offset0:154 offset1:231
	v_fma_f64 v[12:13], v[22:23], s[14:15], v[20:21]
	v_add_f64_e32 v[20:21], v[154:155], v[146:147]
	v_fma_f64 v[18:19], v[18:19], -0.5, v[14:15]
	v_add_f64_e64 v[22:23], v[146:147], -v[178:179]
	s_delay_alu instid0(VALU_DEP_4) | instskip(NEXT) | instid1(VALU_DEP_4)
	v_fma_f64 v[12:13], v[26:27], s[12:13], v[12:13]
	v_fma_f64 v[20:21], v[20:21], -0.5, v[14:15]
	v_add_f64_e32 v[14:15], v[14:15], v[154:155]
	s_delay_alu instid0(VALU_DEP_3)
	v_fma_f64 v[2:3], v[2:3], s[10:11], v[12:13]
	v_add_f64_e64 v[12:13], v[154:155], -v[118:119]
	ds_store_b64 v254, v[2:3] offset:2464
	v_lshlrev_b32_e32 v2, 3, v68
	s_wait_alu 0xf1ff
	v_cndmask_b32_e64 v3, 0, 0xc08, s0
	v_add_f64_e32 v[12:13], v[12:13], v[22:23]
	v_add_f64_e64 v[22:23], v[91:92], -v[164:165]
	s_delay_alu instid0(VALU_DEP_3) | instskip(SKIP_2) | instid1(VALU_DEP_2)
	v_add3_u32 v74, 0, v3, v2
	v_add_f64_e32 v[2:3], v[14:15], v[118:119]
	v_add_f64_e64 v[14:15], v[136:137], -v[120:121]
	v_add_f64_e32 v[2:3], v[2:3], v[178:179]
	s_delay_alu instid0(VALU_DEP_2) | instskip(NEXT) | instid1(VALU_DEP_2)
	v_fma_f64 v[26:27], v[14:15], s[6:7], v[18:19]
	v_add_f64_e32 v[2:3], v[2:3], v[146:147]
	s_delay_alu instid0(VALU_DEP_2) | instskip(NEXT) | instid1(VALU_DEP_1)
	v_fma_f64 v[26:27], v[22:23], s[2:3], v[26:27]
	v_fma_f64 v[26:27], v[12:13], s[10:11], v[26:27]
	ds_store_2addr_b64 v74, v[2:3], v[26:27] offset1:77
	v_add_f64_e64 v[2:3], v[118:119], -v[154:155]
	v_add_f64_e64 v[26:27], v[178:179], -v[146:147]
	;; [unrolled: 1-line block ×6, first 2 shown]
	v_add_f64_e32 v[2:3], v[2:3], v[26:27]
	v_fma_f64 v[26:27], v[22:23], s[14:15], v[20:21]
	v_fma_f64 v[20:21], v[22:23], s[6:7], v[20:21]
	s_delay_alu instid0(VALU_DEP_4) | instskip(NEXT) | instid1(VALU_DEP_3)
	v_add_f64_e32 v[154:155], v[154:155], v[178:179]
	v_fma_f64 v[26:27], v[14:15], s[2:3], v[26:27]
	s_delay_alu instid0(VALU_DEP_3) | instskip(NEXT) | instid1(VALU_DEP_2)
	v_fma_f64 v[20:21], v[14:15], s[12:13], v[20:21]
	v_fma_f64 v[26:27], v[2:3], s[10:11], v[26:27]
	s_delay_alu instid0(VALU_DEP_2)
	v_fma_f64 v[2:3], v[2:3], s[10:11], v[20:21]
	v_add_f64_e64 v[20:21], v[134:135], -v[114:115]
	ds_store_2addr_b64 v74, v[26:27], v[2:3] offset0:154 offset1:231
	v_fma_f64 v[2:3], v[14:15], s[14:15], v[18:19]
	v_add_f64_e64 v[14:15], v[176:177], -v[150:151]
	v_add_f64_e64 v[18:19], v[87:88], -v[162:163]
	s_delay_alu instid0(VALU_DEP_3) | instskip(NEXT) | instid1(VALU_DEP_1)
	v_fma_f64 v[2:3], v[22:23], s[12:13], v[2:3]
	v_fma_f64 v[2:3], v[12:13], s[10:11], v[2:3]
	v_add_f64_e64 v[12:13], v[126:127], -v[156:157]
	ds_store_b64 v74, v[2:3] offset:2464
	v_add_f64_e32 v[12:13], v[12:13], v[14:15]
	v_add_f64_e32 v[14:15], v[156:157], v[150:151]
	v_and_b32_e32 v2, 0xffff, v60
	v_lshlrev_b32_e32 v3, 3, v61
	s_delay_alu instid0(VALU_DEP_2) | instskip(NEXT) | instid1(VALU_DEP_1)
	v_mul_u32_u24_e32 v2, 0xc08, v2
	v_add3_u32 v105, 0, v2, v3
	v_add_f64_e32 v[2:3], v[8:9], v[126:127]
	v_fma_f64 v[14:15], v[14:15], -0.5, v[8:9]
	s_delay_alu instid0(VALU_DEP_2) | instskip(NEXT) | instid1(VALU_DEP_2)
	v_add_f64_e32 v[2:3], v[2:3], v[156:157]
	v_fma_f64 v[22:23], v[18:19], s[6:7], v[14:15]
	s_delay_alu instid0(VALU_DEP_2) | instskip(NEXT) | instid1(VALU_DEP_2)
	v_add_f64_e32 v[2:3], v[2:3], v[150:151]
	v_fma_f64 v[22:23], v[20:21], s[2:3], v[22:23]
	;; [unrolled: 3-line block ×3, first 2 shown]
	ds_store_2addr_b64 v105, v[2:3], v[22:23] offset1:77
	v_add_f64_e64 v[2:3], v[156:157], -v[126:127]
	v_add_f64_e64 v[22:23], v[150:151], -v[176:177]
	s_delay_alu instid0(VALU_DEP_1) | instskip(SKIP_1) | instid1(VALU_DEP_1)
	v_add_f64_e32 v[2:3], v[2:3], v[22:23]
	v_add_f64_e32 v[22:23], v[126:127], v[176:177]
	v_fma_f64 v[8:9], v[22:23], -0.5, v[8:9]
	s_delay_alu instid0(VALU_DEP_1) | instskip(SKIP_1) | instid1(VALU_DEP_2)
	v_fma_f64 v[22:23], v[20:21], s[14:15], v[8:9]
	v_fma_f64 v[8:9], v[20:21], s[6:7], v[8:9]
	;; [unrolled: 1-line block ×3, first 2 shown]
	s_delay_alu instid0(VALU_DEP_2) | instskip(NEXT) | instid1(VALU_DEP_2)
	v_fma_f64 v[8:9], v[18:19], s[12:13], v[8:9]
	v_fma_f64 v[22:23], v[2:3], s[10:11], v[22:23]
	s_delay_alu instid0(VALU_DEP_2)
	v_fma_f64 v[2:3], v[2:3], s[10:11], v[8:9]
	v_add_f64_e32 v[8:9], v[99:100], v[170:171]
	ds_store_2addr_b64 v105, v[22:23], v[2:3] offset0:154 offset1:231
	v_fma_f64 v[2:3], v[18:19], s[14:15], v[14:15]
	v_add_f64_e32 v[14:15], v[142:143], v[130:131]
	v_fma_f64 v[8:9], v[8:9], -0.5, v[10:11]
	v_add_f64_e64 v[18:19], v[130:131], -v[170:171]
	s_delay_alu instid0(VALU_DEP_4) | instskip(NEXT) | instid1(VALU_DEP_4)
	v_fma_f64 v[2:3], v[20:21], s[12:13], v[2:3]
	v_fma_f64 v[14:15], v[14:15], -0.5, v[10:11]
	v_add_f64_e32 v[10:11], v[10:11], v[142:143]
	s_delay_alu instid0(VALU_DEP_3)
	v_fma_f64 v[2:3], v[12:13], s[10:11], v[2:3]
	v_add_f64_e64 v[12:13], v[142:143], -v[99:100]
	ds_store_b64 v105, v[2:3] offset:2464
	v_add_f64_e32 v[2:3], v[10:11], v[99:100]
	v_add_f64_e64 v[10:11], v[122:123], -v[101:102]
	v_add_f64_e32 v[12:13], v[12:13], v[18:19]
	v_add_f64_e64 v[18:19], v[85:86], -v[158:159]
	s_delay_alu instid0(VALU_DEP_4) | instskip(NEXT) | instid1(VALU_DEP_4)
	v_add_f64_e32 v[2:3], v[2:3], v[170:171]
	v_fma_f64 v[20:21], v[10:11], s[6:7], v[8:9]
	s_delay_alu instid0(VALU_DEP_2) | instskip(NEXT) | instid1(VALU_DEP_2)
	v_add_f64_e32 v[2:3], v[2:3], v[130:131]
	v_fma_f64 v[20:21], v[18:19], s[2:3], v[20:21]
	s_delay_alu instid0(VALU_DEP_1) | instskip(SKIP_4) | instid1(VALU_DEP_2)
	v_fma_f64 v[20:21], v[12:13], s[10:11], v[20:21]
	ds_store_2addr_b64 v217, v[2:3], v[20:21] offset0:2 offset1:79
	v_add_f64_e64 v[2:3], v[99:100], -v[142:143]
	v_add_f64_e64 v[20:21], v[170:171], -v[130:131]
	;; [unrolled: 1-line block ×3, first 2 shown]
	v_add_f64_e32 v[2:3], v[2:3], v[20:21]
	v_fma_f64 v[20:21], v[18:19], s[14:15], v[14:15]
	v_fma_f64 v[14:15], v[18:19], s[6:7], v[14:15]
	s_delay_alu instid0(VALU_DEP_2) | instskip(NEXT) | instid1(VALU_DEP_2)
	v_fma_f64 v[20:21], v[10:11], s[2:3], v[20:21]
	v_fma_f64 v[14:15], v[10:11], s[12:13], v[14:15]
	s_delay_alu instid0(VALU_DEP_2) | instskip(NEXT) | instid1(VALU_DEP_2)
	v_fma_f64 v[20:21], v[2:3], s[10:11], v[20:21]
	v_fma_f64 v[2:3], v[2:3], s[10:11], v[14:15]
	v_add_f64_e64 v[14:15], v[128:129], -v[106:107]
	ds_store_2addr_b64 v217, v[20:21], v[2:3] offset0:156 offset1:233
	v_fma_f64 v[2:3], v[10:11], s[14:15], v[8:9]
	v_add_f64_e64 v[8:9], v[108:109], -v[152:153]
	v_add_f64_e64 v[10:11], v[172:173], -v[144:145]
	s_delay_alu instid0(VALU_DEP_3) | instskip(NEXT) | instid1(VALU_DEP_2)
	v_fma_f64 v[2:3], v[18:19], s[12:13], v[2:3]
	v_add_f64_e32 v[8:9], v[8:9], v[10:11]
	v_add_f64_e32 v[10:11], v[152:153], v[144:145]
	s_delay_alu instid0(VALU_DEP_3) | instskip(SKIP_1) | instid1(VALU_DEP_3)
	v_fma_f64 v[2:3], v[12:13], s[10:11], v[2:3]
	v_add_f64_e64 v[12:13], v[83:84], -v[160:161]
	v_fma_f64 v[10:11], v[10:11], -0.5, v[4:5]
	ds_store_b64 v201, v[2:3] offset:8624
	v_mul_u32_u24_e32 v2, 0xc08, v40
	v_lshlrev_b32_e32 v3, 3, v41
	v_fma_f64 v[18:19], v[12:13], s[6:7], v[10:11]
	s_delay_alu instid0(VALU_DEP_2) | instskip(SKIP_1) | instid1(VALU_DEP_3)
	v_add3_u32 v218, 0, v2, v3
	v_add_f64_e32 v[2:3], v[4:5], v[108:109]
	v_fma_f64 v[18:19], v[14:15], s[2:3], v[18:19]
	s_delay_alu instid0(VALU_DEP_2) | instskip(NEXT) | instid1(VALU_DEP_2)
	v_add_f64_e32 v[2:3], v[2:3], v[152:153]
	v_fma_f64 v[18:19], v[8:9], s[10:11], v[18:19]
	s_delay_alu instid0(VALU_DEP_2) | instskip(NEXT) | instid1(VALU_DEP_1)
	v_add_f64_e32 v[2:3], v[2:3], v[144:145]
	v_add_f64_e32 v[2:3], v[2:3], v[172:173]
	ds_store_2addr_b64 v218, v[2:3], v[18:19] offset1:77
	v_add_f64_e64 v[2:3], v[152:153], -v[108:109]
	v_add_f64_e64 v[18:19], v[144:145], -v[172:173]
	s_delay_alu instid0(VALU_DEP_1) | instskip(SKIP_1) | instid1(VALU_DEP_1)
	v_add_f64_e32 v[2:3], v[2:3], v[18:19]
	v_add_f64_e32 v[18:19], v[108:109], v[172:173]
	v_fma_f64 v[4:5], v[18:19], -0.5, v[4:5]
	s_delay_alu instid0(VALU_DEP_1) | instskip(SKIP_1) | instid1(VALU_DEP_2)
	v_fma_f64 v[18:19], v[14:15], s[14:15], v[4:5]
	v_fma_f64 v[4:5], v[14:15], s[6:7], v[4:5]
	;; [unrolled: 1-line block ×3, first 2 shown]
	s_delay_alu instid0(VALU_DEP_2) | instskip(NEXT) | instid1(VALU_DEP_2)
	v_fma_f64 v[4:5], v[12:13], s[12:13], v[4:5]
	v_fma_f64 v[18:19], v[2:3], s[10:11], v[18:19]
	s_delay_alu instid0(VALU_DEP_2)
	v_fma_f64 v[2:3], v[2:3], s[10:11], v[4:5]
	v_add_f64_e32 v[4:5], v[93:94], v[174:175]
	ds_store_2addr_b64 v218, v[18:19], v[2:3] offset0:154 offset1:231
	v_fma_f64 v[2:3], v[12:13], s[14:15], v[10:11]
	v_add_f64_e32 v[10:11], v[132:133], v[116:117]
	v_fma_f64 v[4:5], v[4:5], -0.5, v[6:7]
	v_add_f64_e64 v[12:13], v[116:117], -v[174:175]
	s_delay_alu instid0(VALU_DEP_4) | instskip(NEXT) | instid1(VALU_DEP_4)
	v_fma_f64 v[2:3], v[14:15], s[12:13], v[2:3]
	v_fma_f64 v[10:11], v[10:11], -0.5, v[6:7]
	v_add_f64_e32 v[6:7], v[6:7], v[132:133]
	s_delay_alu instid0(VALU_DEP_3)
	v_fma_f64 v[2:3], v[8:9], s[10:11], v[2:3]
	v_add_f64_e64 v[8:9], v[132:133], -v[93:94]
	ds_store_b64 v218, v[2:3] offset:2464
	v_mul_u32_u24_e32 v2, 0xc08, v32
	v_lshlrev_b32_e32 v3, 3, v33
	v_add_f64_e32 v[8:9], v[8:9], v[12:13]
	v_add_f64_e64 v[12:13], v[81:82], -v[166:167]
	s_delay_alu instid0(VALU_DEP_3) | instskip(SKIP_2) | instid1(VALU_DEP_2)
	v_add3_u32 v219, 0, v2, v3
	v_add_f64_e32 v[2:3], v[6:7], v[93:94]
	v_add_f64_e64 v[6:7], v[112:113], -v[97:98]
	v_add_f64_e32 v[2:3], v[2:3], v[174:175]
	s_delay_alu instid0(VALU_DEP_2) | instskip(NEXT) | instid1(VALU_DEP_2)
	v_fma_f64 v[14:15], v[6:7], s[6:7], v[4:5]
	v_add_f64_e32 v[2:3], v[2:3], v[116:117]
	s_delay_alu instid0(VALU_DEP_2) | instskip(NEXT) | instid1(VALU_DEP_1)
	v_fma_f64 v[14:15], v[12:13], s[2:3], v[14:15]
	v_fma_f64 v[14:15], v[8:9], s[10:11], v[14:15]
	ds_store_2addr_b64 v219, v[2:3], v[14:15] offset1:77
	v_add_f64_e64 v[2:3], v[93:94], -v[132:133]
	v_add_f64_e64 v[14:15], v[174:175], -v[116:117]
	s_delay_alu instid0(VALU_DEP_1) | instskip(SKIP_2) | instid1(VALU_DEP_2)
	v_add_f64_e32 v[2:3], v[2:3], v[14:15]
	v_fma_f64 v[14:15], v[12:13], s[14:15], v[10:11]
	v_fma_f64 v[10:11], v[12:13], s[6:7], v[10:11]
	v_fma_f64 v[14:15], v[6:7], s[2:3], v[14:15]
	s_delay_alu instid0(VALU_DEP_2) | instskip(NEXT) | instid1(VALU_DEP_2)
	v_fma_f64 v[10:11], v[6:7], s[12:13], v[10:11]
	v_fma_f64 v[14:15], v[2:3], s[10:11], v[14:15]
	s_delay_alu instid0(VALU_DEP_2)
	v_fma_f64 v[2:3], v[2:3], s[10:11], v[10:11]
	v_add_f64_e64 v[10:11], v[148:149], -v[140:141]
	ds_store_2addr_b64 v219, v[14:15], v[2:3] offset0:154 offset1:231
	v_fma_f64 v[2:3], v[6:7], s[14:15], v[4:5]
	v_add_f64_e32 v[4:5], v[110:111], v[140:141]
	v_add_f64_e32 v[6:7], v[89:90], v[148:149]
	s_delay_alu instid0(VALU_DEP_3) | instskip(NEXT) | instid1(VALU_DEP_3)
	v_fma_f64 v[2:3], v[12:13], s[12:13], v[2:3]
	v_fma_f64 v[4:5], v[4:5], -0.5, v[0:1]
	s_delay_alu instid0(VALU_DEP_3) | instskip(SKIP_1) | instid1(VALU_DEP_4)
	v_fma_f64 v[6:7], v[6:7], -0.5, v[0:1]
	v_add_f64_e32 v[0:1], v[0:1], v[89:90]
	v_fma_f64 v[2:3], v[8:9], s[10:11], v[2:3]
	v_add_f64_e64 v[8:9], v[89:90], -v[110:111]
	s_delay_alu instid0(VALU_DEP_3)
	v_add_f64_e32 v[0:1], v[0:1], v[110:111]
	ds_store_b64 v219, v[2:3] offset:2464
	v_add_f64_e64 v[2:3], v[79:80], -v[103:104]
	v_add_f64_e32 v[8:9], v[8:9], v[10:11]
	v_add_f64_e64 v[10:11], v[95:96], -v[124:125]
	v_add_f64_e32 v[0:1], v[0:1], v[140:141]
	s_delay_alu instid0(VALU_DEP_4) | instskip(NEXT) | instid1(VALU_DEP_2)
	v_fma_f64 v[12:13], v[2:3], s[6:7], v[4:5]
	v_add_f64_e32 v[0:1], v[0:1], v[148:149]
	s_delay_alu instid0(VALU_DEP_2) | instskip(NEXT) | instid1(VALU_DEP_1)
	v_fma_f64 v[12:13], v[10:11], s[2:3], v[12:13]
	v_fma_f64 v[12:13], v[8:9], s[10:11], v[12:13]
	ds_store_2addr_b64 v221, v[0:1], v[12:13] offset0:4 offset1:81
	v_add_f64_e64 v[0:1], v[110:111], -v[89:90]
	v_add_f64_e64 v[12:13], v[140:141], -v[148:149]
	s_delay_alu instid0(VALU_DEP_1) | instskip(SKIP_2) | instid1(VALU_DEP_2)
	v_add_f64_e32 v[0:1], v[0:1], v[12:13]
	v_fma_f64 v[12:13], v[10:11], s[14:15], v[6:7]
	v_fma_f64 v[6:7], v[10:11], s[6:7], v[6:7]
	;; [unrolled: 1-line block ×3, first 2 shown]
	s_delay_alu instid0(VALU_DEP_2) | instskip(NEXT) | instid1(VALU_DEP_2)
	v_fma_f64 v[6:7], v[2:3], s[12:13], v[6:7]
	v_fma_f64 v[12:13], v[0:1], s[10:11], v[12:13]
	s_delay_alu instid0(VALU_DEP_2) | instskip(SKIP_4) | instid1(VALU_DEP_3)
	v_fma_f64 v[0:1], v[0:1], s[10:11], v[6:7]
	ds_store_2addr_b64 v221, v[12:13], v[0:1] offset0:158 offset1:235
	v_fma_f64 v[0:1], v[2:3], s[14:15], v[4:5]
	v_add_f64_e64 v[2:3], v[182:183], -v[138:139]
	v_add_f64_e64 v[4:5], v[168:169], -v[180:181]
	v_fma_f64 v[0:1], v[10:11], s[12:13], v[0:1]
	s_delay_alu instid0(VALU_DEP_2) | instskip(SKIP_1) | instid1(VALU_DEP_3)
	v_add_f64_e32 v[199:200], v[2:3], v[4:5]
	v_add_f64_e32 v[2:3], v[138:139], v[180:181]
	v_fma_f64 v[0:1], v[8:9], s[10:11], v[0:1]
	s_delay_alu instid0(VALU_DEP_2)
	v_fma_f64 v[211:212], v[2:3], -0.5, v[187:188]
	ds_store_b64 v220, v[0:1] offset:14784
	v_add_f64_e32 v[0:1], v[187:188], v[182:183]
	global_wb scope:SCOPE_SE
	s_wait_dscnt 0x0
	v_fma_f64 v[2:3], v[197:198], s[14:15], v[211:212]
	s_barrier_signal -1
	s_barrier_wait -1
	global_inv scope:SCOPE_SE
	v_add_f64_e32 v[0:1], v[0:1], v[138:139]
	v_add_f64_e64 v[138:139], v[138:139], -v[182:183]
	v_fma_f64 v[2:3], v[195:196], s[12:13], v[2:3]
	s_delay_alu instid0(VALU_DEP_3) | instskip(SKIP_1) | instid1(VALU_DEP_3)
	v_add_f64_e32 v[0:1], v[0:1], v[180:181]
	v_add_f64_e64 v[180:181], v[180:181], -v[168:169]
	v_fma_f64 v[215:216], v[199:200], s[10:11], v[2:3]
	ds_load_b64 v[77:78], v254 offset:14960
	ds_load_2addr_b64 v[2:5], v203 offset0:74 offset1:129
	ds_load_2addr_b64 v[20:23], v203 offset0:184 offset1:239
	;; [unrolled: 1-line block ×15, first 2 shown]
	ds_load_2addr_b64 v[250:253], v254 offset1:55
	ds_load_2addr_b64 v[6:9], v254 offset0:110 offset1:165
	global_wb scope:SCOPE_SE
	s_wait_dscnt 0x0
	s_barrier_signal -1
	s_barrier_wait -1
	global_inv scope:SCOPE_SE
	v_add_f64_e32 v[213:214], v[0:1], v[168:169]
	v_add_f64_e32 v[168:169], v[182:183], v[168:169]
	;; [unrolled: 1-line block ×4, first 2 shown]
	ds_store_2addr_b64 v254, v[213:214], v[215:216] offset1:77
	v_fma_f64 v[168:169], v[168:169], -0.5, v[187:188]
	s_delay_alu instid0(VALU_DEP_1) | instskip(SKIP_1) | instid1(VALU_DEP_2)
	v_fma_f64 v[180:181], v[195:196], s[6:7], v[168:169]
	v_fma_f64 v[168:169], v[195:196], s[14:15], v[168:169]
	;; [unrolled: 1-line block ×3, first 2 shown]
	s_delay_alu instid0(VALU_DEP_2) | instskip(NEXT) | instid1(VALU_DEP_2)
	v_fma_f64 v[168:169], v[197:198], s[2:3], v[168:169]
	v_fma_f64 v[180:181], v[138:139], s[10:11], v[180:181]
	s_delay_alu instid0(VALU_DEP_2)
	v_fma_f64 v[138:139], v[138:139], s[10:11], v[168:169]
	v_add_f64_e32 v[168:169], v[91:92], v[164:165]
	ds_store_2addr_b64 v254, v[180:181], v[138:139] offset0:154 offset1:231
	v_fma_f64 v[138:139], v[197:198], s[6:7], v[211:212]
	v_add_f64_e32 v[180:181], v[136:137], v[120:121]
	v_fma_f64 v[168:169], v[168:169], -0.5, v[189:190]
	s_delay_alu instid0(VALU_DEP_3) | instskip(NEXT) | instid1(VALU_DEP_3)
	v_fma_f64 v[138:139], v[195:196], s[2:3], v[138:139]
	v_fma_f64 v[180:181], v[180:181], -0.5, v[189:190]
	s_delay_alu instid0(VALU_DEP_3) | instskip(NEXT) | instid1(VALU_DEP_3)
	v_fma_f64 v[178:179], v[146:147], s[14:15], v[168:169]
	v_fma_f64 v[138:139], v[199:200], s[10:11], v[138:139]
	s_delay_alu instid0(VALU_DEP_2)
	v_fma_f64 v[178:179], v[118:119], s[12:13], v[178:179]
	ds_store_b64 v254, v[138:139] offset:2464
	v_add_f64_e32 v[138:139], v[182:183], v[91:92]
	v_add_f64_e64 v[91:92], v[91:92], -v[136:137]
	v_fma_f64 v[136:137], v[118:119], s[14:15], v[180:181]
	v_fma_f64 v[178:179], v[154:155], s[10:11], v[178:179]
	s_delay_alu instid0(VALU_DEP_4) | instskip(NEXT) | instid1(VALU_DEP_3)
	v_add_f64_e32 v[138:139], v[138:139], v[164:165]
	v_fma_f64 v[136:137], v[146:147], s[2:3], v[136:137]
	s_delay_alu instid0(VALU_DEP_2) | instskip(SKIP_4) | instid1(VALU_DEP_1)
	v_add_f64_e32 v[138:139], v[138:139], v[120:121]
	v_add_f64_e64 v[120:121], v[164:165], -v[120:121]
	ds_store_2addr_b64 v74, v[138:139], v[178:179] offset1:77
	v_add_f64_e32 v[91:92], v[91:92], v[120:121]
	v_fma_f64 v[120:121], v[118:119], s[6:7], v[180:181]
	v_fma_f64 v[120:121], v[146:147], s[12:13], v[120:121]
	s_delay_alu instid0(VALU_DEP_1)
	v_fma_f64 v[120:121], v[91:92], s[10:11], v[120:121]
	v_fma_f64 v[91:92], v[91:92], s[10:11], v[136:137]
	v_add_f64_e32 v[136:137], v[134:135], v[114:115]
	ds_store_2addr_b64 v74, v[120:121], v[91:92] offset0:154 offset1:231
	v_fma_f64 v[91:92], v[146:147], s[6:7], v[168:169]
	v_add_f64_e64 v[120:121], v[87:88], -v[134:135]
	v_fma_f64 v[136:137], v[136:137], -0.5, v[191:192]
	s_delay_alu instid0(VALU_DEP_3) | instskip(SKIP_2) | instid1(VALU_DEP_3)
	v_fma_f64 v[91:92], v[118:119], s[2:3], v[91:92]
	v_add_f64_e64 v[118:119], v[126:127], -v[176:177]
	v_add_f64_e64 v[126:127], v[162:163], -v[114:115]
	v_fma_f64 v[91:92], v[154:155], s[10:11], v[91:92]
	s_delay_alu instid0(VALU_DEP_3) | instskip(NEXT) | instid1(VALU_DEP_3)
	v_fma_f64 v[138:139], v[118:119], s[14:15], v[136:137]
	v_add_f64_e32 v[120:121], v[120:121], v[126:127]
	v_add_f64_e32 v[126:127], v[191:192], v[87:88]
	ds_store_b64 v74, v[91:92] offset:2464
	v_add_f64_e64 v[91:92], v[156:157], -v[150:151]
	v_add_f64_e32 v[126:127], v[126:127], v[134:135]
	s_delay_alu instid0(VALU_DEP_2) | instskip(NEXT) | instid1(VALU_DEP_2)
	v_fma_f64 v[138:139], v[91:92], s[12:13], v[138:139]
	v_add_f64_e32 v[126:127], v[126:127], v[114:115]
	v_add_f64_e64 v[114:115], v[114:115], -v[162:163]
	s_delay_alu instid0(VALU_DEP_3) | instskip(NEXT) | instid1(VALU_DEP_3)
	v_fma_f64 v[138:139], v[120:121], s[10:11], v[138:139]
	v_add_f64_e32 v[126:127], v[126:127], v[162:163]
	ds_store_2addr_b64 v105, v[126:127], v[138:139] offset1:77
	v_add_f64_e64 v[126:127], v[134:135], -v[87:88]
	v_add_f64_e32 v[87:88], v[87:88], v[162:163]
	s_delay_alu instid0(VALU_DEP_2) | instskip(NEXT) | instid1(VALU_DEP_2)
	v_add_f64_e32 v[114:115], v[126:127], v[114:115]
	v_fma_f64 v[87:88], v[87:88], -0.5, v[191:192]
	s_delay_alu instid0(VALU_DEP_1) | instskip(SKIP_1) | instid1(VALU_DEP_2)
	v_fma_f64 v[126:127], v[91:92], s[6:7], v[87:88]
	v_fma_f64 v[87:88], v[91:92], s[14:15], v[87:88]
	;; [unrolled: 1-line block ×3, first 2 shown]
	s_delay_alu instid0(VALU_DEP_2) | instskip(NEXT) | instid1(VALU_DEP_2)
	v_fma_f64 v[87:88], v[118:119], s[2:3], v[87:88]
	v_fma_f64 v[126:127], v[114:115], s[10:11], v[126:127]
	s_delay_alu instid0(VALU_DEP_2)
	v_fma_f64 v[87:88], v[114:115], s[10:11], v[87:88]
	v_add_f64_e32 v[114:115], v[193:194], v[122:123]
	ds_store_2addr_b64 v105, v[126:127], v[87:88] offset0:154 offset1:231
	v_fma_f64 v[87:88], v[118:119], s[6:7], v[136:137]
	v_add_f64_e32 v[114:115], v[114:115], v[85:86]
	v_add_f64_e64 v[126:127], v[101:102], -v[158:159]
	v_add_f64_e64 v[118:119], v[142:143], -v[130:131]
	s_delay_alu instid0(VALU_DEP_4) | instskip(SKIP_2) | instid1(VALU_DEP_3)
	v_fma_f64 v[87:88], v[91:92], s[2:3], v[87:88]
	v_add_f64_e32 v[91:92], v[122:123], v[101:102]
	v_add_f64_e32 v[114:115], v[114:115], v[158:159]
	v_fma_f64 v[87:88], v[120:121], s[10:11], v[87:88]
	s_delay_alu instid0(VALU_DEP_3) | instskip(SKIP_1) | instid1(VALU_DEP_4)
	v_fma_f64 v[91:92], v[91:92], -0.5, v[193:194]
	v_add_f64_e64 v[120:121], v[122:123], -v[85:86]
	v_add_f64_e32 v[114:115], v[114:115], v[101:102]
	v_add_f64_e64 v[101:102], v[158:159], -v[101:102]
	ds_store_b64 v105, v[87:88] offset:2464
	v_add_f64_e32 v[87:88], v[85:86], v[158:159]
	v_add_f64_e64 v[85:86], v[85:86], -v[122:123]
	v_add_f64_e32 v[120:121], v[120:121], v[126:127]
	s_delay_alu instid0(VALU_DEP_3) | instskip(NEXT) | instid1(VALU_DEP_3)
	v_fma_f64 v[87:88], v[87:88], -0.5, v[193:194]
	v_add_f64_e32 v[85:86], v[85:86], v[101:102]
	v_fma_f64 v[101:102], v[99:100], s[6:7], v[91:92]
	v_fma_f64 v[91:92], v[99:100], s[14:15], v[91:92]
	s_delay_alu instid0(VALU_DEP_4) | instskip(NEXT) | instid1(VALU_DEP_3)
	v_fma_f64 v[126:127], v[118:119], s[14:15], v[87:88]
	v_fma_f64 v[101:102], v[118:119], s[12:13], v[101:102]
	s_delay_alu instid0(VALU_DEP_3) | instskip(NEXT) | instid1(VALU_DEP_3)
	v_fma_f64 v[91:92], v[118:119], s[2:3], v[91:92]
	v_fma_f64 v[126:127], v[99:100], s[12:13], v[126:127]
	s_delay_alu instid0(VALU_DEP_3) | instskip(NEXT) | instid1(VALU_DEP_3)
	v_fma_f64 v[101:102], v[85:86], s[10:11], v[101:102]
	v_fma_f64 v[85:86], v[85:86], s[10:11], v[91:92]
	v_add_f64_e64 v[91:92], v[83:84], -v[128:129]
	s_delay_alu instid0(VALU_DEP_4)
	v_fma_f64 v[126:127], v[120:121], s[10:11], v[126:127]
	ds_store_2addr_b64 v217, v[101:102], v[85:86] offset0:156 offset1:233
	v_fma_f64 v[85:86], v[118:119], s[6:7], v[87:88]
	v_add_f64_e32 v[101:102], v[128:129], v[106:107]
	v_add_f64_e64 v[87:88], v[108:109], -v[172:173]
	ds_store_2addr_b64 v217, v[114:115], v[126:127] offset0:2 offset1:79
	v_fma_f64 v[85:86], v[99:100], s[2:3], v[85:86]
	v_add_f64_e64 v[99:100], v[160:161], -v[106:107]
	v_fma_f64 v[101:102], v[101:102], -0.5, v[70:71]
	s_delay_alu instid0(VALU_DEP_3) | instskip(NEXT) | instid1(VALU_DEP_3)
	v_fma_f64 v[85:86], v[120:121], s[10:11], v[85:86]
	v_add_f64_e32 v[91:92], v[91:92], v[99:100]
	v_add_f64_e32 v[99:100], v[70:71], v[83:84]
	s_delay_alu instid0(VALU_DEP_4) | instskip(SKIP_3) | instid1(VALU_DEP_2)
	v_fma_f64 v[108:109], v[87:88], s[14:15], v[101:102]
	ds_store_b64 v201, v[85:86] offset:8624
	v_add_f64_e64 v[85:86], v[152:153], -v[144:145]
	v_add_f64_e32 v[99:100], v[99:100], v[128:129]
	v_fma_f64 v[108:109], v[85:86], s[12:13], v[108:109]
	s_delay_alu instid0(VALU_DEP_2) | instskip(SKIP_1) | instid1(VALU_DEP_3)
	v_add_f64_e32 v[99:100], v[99:100], v[106:107]
	v_add_f64_e64 v[105:106], v[106:107], -v[160:161]
	v_fma_f64 v[108:109], v[91:92], s[10:11], v[108:109]
	s_delay_alu instid0(VALU_DEP_3) | instskip(SKIP_3) | instid1(VALU_DEP_2)
	v_add_f64_e32 v[99:100], v[99:100], v[160:161]
	ds_store_2addr_b64 v218, v[99:100], v[108:109] offset1:77
	v_add_f64_e64 v[99:100], v[128:129], -v[83:84]
	v_add_f64_e32 v[83:84], v[83:84], v[160:161]
	v_add_f64_e32 v[99:100], v[99:100], v[105:106]
	s_delay_alu instid0(VALU_DEP_2) | instskip(NEXT) | instid1(VALU_DEP_1)
	v_fma_f64 v[70:71], v[83:84], -0.5, v[70:71]
	v_fma_f64 v[83:84], v[85:86], s[6:7], v[70:71]
	v_fma_f64 v[70:71], v[85:86], s[14:15], v[70:71]
	s_delay_alu instid0(VALU_DEP_2) | instskip(NEXT) | instid1(VALU_DEP_2)
	v_fma_f64 v[83:84], v[87:88], s[12:13], v[83:84]
	v_fma_f64 v[70:71], v[87:88], s[2:3], v[70:71]
	s_delay_alu instid0(VALU_DEP_2) | instskip(NEXT) | instid1(VALU_DEP_2)
	v_fma_f64 v[83:84], v[99:100], s[10:11], v[83:84]
	v_fma_f64 v[70:71], v[99:100], s[10:11], v[70:71]
	ds_store_2addr_b64 v218, v[83:84], v[70:71] offset0:154 offset1:231
	v_fma_f64 v[70:71], v[87:88], s[6:7], v[101:102]
	v_add_f64_e32 v[83:84], v[112:113], v[97:98]
	v_add_f64_e64 v[87:88], v[97:98], -v[166:167]
	s_delay_alu instid0(VALU_DEP_3) | instskip(NEXT) | instid1(VALU_DEP_3)
	v_fma_f64 v[70:71], v[85:86], s[2:3], v[70:71]
	v_fma_f64 v[83:84], v[83:84], -0.5, v[72:73]
	v_add_f64_e64 v[85:86], v[112:113], -v[81:82]
	s_delay_alu instid0(VALU_DEP_3) | instskip(SKIP_1) | instid1(VALU_DEP_3)
	v_fma_f64 v[70:71], v[91:92], s[10:11], v[70:71]
	v_add_f64_e64 v[91:92], v[132:133], -v[116:117]
	v_add_f64_e32 v[85:86], v[85:86], v[87:88]
	v_add_f64_e64 v[87:88], v[93:94], -v[174:175]
	ds_store_b64 v218, v[70:71] offset:2464
	v_add_f64_e32 v[70:71], v[81:82], v[166:167]
	s_delay_alu instid0(VALU_DEP_1) | instskip(SKIP_1) | instid1(VALU_DEP_2)
	v_fma_f64 v[70:71], v[70:71], -0.5, v[72:73]
	v_add_f64_e32 v[72:73], v[72:73], v[112:113]
	v_fma_f64 v[93:94], v[91:92], s[14:15], v[70:71]
	s_delay_alu instid0(VALU_DEP_2) | instskip(SKIP_1) | instid1(VALU_DEP_3)
	v_add_f64_e32 v[72:73], v[72:73], v[81:82]
	v_fma_f64 v[70:71], v[91:92], s[6:7], v[70:71]
	v_fma_f64 v[93:94], v[87:88], s[12:13], v[93:94]
	s_delay_alu instid0(VALU_DEP_3) | instskip(NEXT) | instid1(VALU_DEP_3)
	v_add_f64_e32 v[72:73], v[72:73], v[166:167]
	v_fma_f64 v[70:71], v[87:88], s[2:3], v[70:71]
	s_delay_alu instid0(VALU_DEP_3) | instskip(NEXT) | instid1(VALU_DEP_3)
	v_fma_f64 v[93:94], v[85:86], s[10:11], v[93:94]
	v_add_f64_e32 v[72:73], v[72:73], v[97:98]
	s_delay_alu instid0(VALU_DEP_3)
	v_fma_f64 v[70:71], v[85:86], s[10:11], v[70:71]
	v_add_f64_e64 v[85:86], v[89:90], -v[148:149]
	ds_store_2addr_b64 v219, v[72:73], v[93:94] offset1:77
	v_add_f64_e64 v[72:73], v[81:82], -v[112:113]
	v_add_f64_e64 v[81:82], v[166:167], -v[97:98]
	ds_store_b64 v219, v[70:71] offset:2464
	v_add_f64_e32 v[70:71], v[95:96], v[124:125]
	v_add_f64_e32 v[72:73], v[72:73], v[81:82]
	v_fma_f64 v[81:82], v[87:88], s[6:7], v[83:84]
	v_fma_f64 v[83:84], v[87:88], s[14:15], v[83:84]
	s_delay_alu instid0(VALU_DEP_4) | instskip(NEXT) | instid1(VALU_DEP_3)
	v_fma_f64 v[70:71], v[70:71], -0.5, v[56:57]
	v_fma_f64 v[81:82], v[91:92], s[12:13], v[81:82]
	s_delay_alu instid0(VALU_DEP_3) | instskip(NEXT) | instid1(VALU_DEP_3)
	v_fma_f64 v[83:84], v[91:92], s[2:3], v[83:84]
	v_fma_f64 v[87:88], v[85:86], s[14:15], v[70:71]
	s_delay_alu instid0(VALU_DEP_3) | instskip(NEXT) | instid1(VALU_DEP_3)
	v_fma_f64 v[81:82], v[72:73], s[10:11], v[81:82]
	v_fma_f64 v[72:73], v[72:73], s[10:11], v[83:84]
	v_add_f64_e64 v[83:84], v[103:104], -v[124:125]
	ds_store_2addr_b64 v219, v[81:82], v[72:73] offset0:154 offset1:231
	v_add_f64_e32 v[72:73], v[79:80], v[103:104]
	v_add_f64_e64 v[81:82], v[79:80], -v[95:96]
	s_delay_alu instid0(VALU_DEP_2) | instskip(SKIP_1) | instid1(VALU_DEP_3)
	v_fma_f64 v[72:73], v[72:73], -0.5, v[56:57]
	v_add_f64_e32 v[56:57], v[56:57], v[79:80]
	v_add_f64_e32 v[81:82], v[81:82], v[83:84]
	v_add_f64_e64 v[83:84], v[110:111], -v[140:141]
	s_delay_alu instid0(VALU_DEP_3) | instskip(NEXT) | instid1(VALU_DEP_2)
	v_add_f64_e32 v[56:57], v[56:57], v[95:96]
	v_fma_f64 v[87:88], v[83:84], s[12:13], v[87:88]
	s_delay_alu instid0(VALU_DEP_2) | instskip(NEXT) | instid1(VALU_DEP_2)
	v_add_f64_e32 v[56:57], v[56:57], v[124:125]
	v_fma_f64 v[87:88], v[81:82], s[10:11], v[87:88]
	s_delay_alu instid0(VALU_DEP_2) | instskip(SKIP_3) | instid1(VALU_DEP_1)
	v_add_f64_e32 v[56:57], v[56:57], v[103:104]
	ds_store_2addr_b64 v221, v[56:57], v[87:88] offset0:4 offset1:81
	v_add_f64_e64 v[56:57], v[95:96], -v[79:80]
	v_add_f64_e64 v[79:80], v[124:125], -v[103:104]
	v_add_f64_e32 v[56:57], v[56:57], v[79:80]
	v_fma_f64 v[79:80], v[83:84], s[6:7], v[72:73]
	v_fma_f64 v[72:73], v[83:84], s[14:15], v[72:73]
	s_delay_alu instid0(VALU_DEP_2) | instskip(NEXT) | instid1(VALU_DEP_2)
	v_fma_f64 v[79:80], v[85:86], s[12:13], v[79:80]
	v_fma_f64 v[72:73], v[85:86], s[2:3], v[72:73]
	s_delay_alu instid0(VALU_DEP_2) | instskip(NEXT) | instid1(VALU_DEP_2)
	v_fma_f64 v[79:80], v[56:57], s[10:11], v[79:80]
	v_fma_f64 v[56:57], v[56:57], s[10:11], v[72:73]
	ds_store_2addr_b64 v221, v[79:80], v[56:57] offset0:158 offset1:235
	v_fma_f64 v[56:57], v[85:86], s[6:7], v[70:71]
	s_delay_alu instid0(VALU_DEP_1) | instskip(NEXT) | instid1(VALU_DEP_1)
	v_fma_f64 v[56:57], v[83:84], s[2:3], v[56:57]
	v_fma_f64 v[56:57], v[81:82], s[10:11], v[56:57]
	ds_store_b64 v220, v[56:57] offset:14784
	global_wb scope:SCOPE_SE
	s_wait_dscnt 0x0
	s_barrier_signal -1
	s_barrier_wait -1
	global_inv scope:SCOPE_SE
	s_and_saveexec_b32 s0, vcc_lo
	s_cbranch_execz .LBB0_21
; %bb.20:
	v_dual_mov_b32 v0, v184 :: v_dual_lshlrev_b32 v225, 2, v184
	global_load_b128 v[79:82], v[75:76], off offset:6080
	v_dual_mov_b32 v1, v226 :: v_dual_add_nc_u32 v74, 0x2000, v254
	v_lshlrev_b64_e32 v[56:57], 4, v[225:226]
	v_lshlrev_b32_e32 v225, 2, v186
	v_add_nc_u32_e32 v244, 0x800, v254
	v_add_nc_u32_e32 v183, 0x1000, v254
	;; [unrolled: 1-line block ×4, first 2 shown]
	v_add_co_u32 v56, vcc_lo, s4, v56
	v_lshlrev_b64_e32 v[70:71], 4, v[225:226]
	s_wait_alu 0xfffd
	v_add_co_ci_u32_e32 v57, vcc_lo, s5, v57, vcc_lo
	v_lshlrev_b32_e32 v225, 2, v185
	v_add_nc_u32_e32 v206, 0x1c00, v254
	v_add_nc_u32_e32 v247, 0x3000, v254
	v_add_co_u32 v70, vcc_lo, s4, v70
	global_load_b128 v[83:86], v[56:57], off offset:6064
	s_wait_alu 0xfffd
	v_add_co_ci_u32_e32 v71, vcc_lo, s5, v71, vcc_lo
	s_clause 0x3
	global_load_b128 v[87:90], v[56:57], off offset:6048
	global_load_b128 v[91:94], v[70:71], off offset:6048
	;; [unrolled: 1-line block ×4, first 2 shown]
	v_lshlrev_b64_e32 v[72:73], 4, v[225:226]
	v_lshlrev_b32_e32 v225, 2, v255
	s_clause 0x1
	global_load_b128 v[103:106], v[70:71], off offset:6080
	global_load_b128 v[107:110], v[70:71], off offset:6096
	v_add_nc_u32_e32 v246, 0x400, v254
	v_add_co_u32 v139, vcc_lo, s4, v72
	s_wait_alu 0xfffd
	v_add_co_ci_u32_e32 v140, vcc_lo, s5, v73, vcc_lo
	s_clause 0x4
	global_load_b128 v[111:114], v[139:140], off offset:6096
	global_load_b128 v[115:118], v[75:76], off offset:6064
	;; [unrolled: 1-line block ×5, first 2 shown]
	v_lshlrev_b64_e32 v[56:57], 4, v[225:226]
	v_lshlrev_b32_e32 v225, 2, v223
	s_clause 0x2
	global_load_b128 v[131:134], v[139:140], off offset:6064
	global_load_b128 v[135:138], v[139:140], off offset:6048
	;; [unrolled: 1-line block ×3, first 2 shown]
	v_add_co_u32 v56, vcc_lo, s4, v56
	v_lshlrev_b64_e32 v[70:71], 4, v[225:226]
	s_wait_alu 0xfffd
	v_add_co_ci_u32_e32 v57, vcc_lo, s5, v57, vcc_lo
	s_clause 0x3
	global_load_b128 v[143:146], v[56:57], off offset:6096
	global_load_b128 v[147:150], v[56:57], off offset:6080
	;; [unrolled: 1-line block ×4, first 2 shown]
	v_add_co_u32 v56, vcc_lo, s4, v70
	s_wait_alu 0xfffd
	v_add_co_ci_u32_e32 v57, vcc_lo, s5, v71, vcc_lo
	v_lshlrev_b32_e32 v225, 2, v222
	s_clause 0x3
	global_load_b128 v[159:162], v[56:57], off offset:6064
	global_load_b128 v[163:166], v[56:57], off offset:6048
	;; [unrolled: 1-line block ×4, first 2 shown]
	v_lshlrev_b64_e32 v[56:57], 4, v[225:226]
	v_mov_b32_e32 v225, v1
	s_delay_alu instid0(VALU_DEP_2) | instskip(SKIP_1) | instid1(VALU_DEP_3)
	v_add_co_u32 v56, vcc_lo, s4, v56
	s_wait_alu 0xfffd
	v_add_co_ci_u32_e32 v57, vcc_lo, s5, v57, vcc_lo
	s_clause 0x3
	global_load_b128 v[70:73], v[56:57], off offset:6048
	global_load_b128 v[175:178], v[56:57], off offset:6096
	;; [unrolled: 1-line block ×4, first 2 shown]
	ds_load_2addr_b64 v[190:193], v74 offset0:76 offset1:131
	ds_load_2addr_b64 v[198:201], v244 offset0:74 offset1:129
	;; [unrolled: 1-line block ×4, first 2 shown]
	v_lshlrev_b64_e32 v[14:15], 4, v[224:225]
	s_wait_loadcnt_dscnt 0x1b03
	v_mul_f64_e32 v[56:57], v[79:80], v[192:193]
	v_mul_f64_e32 v[75:76], v[81:82], v[192:193]
	s_wait_loadcnt 0x1a
	v_mul_f64_e32 v[212:213], v[83:84], v[190:191]
	v_mul_f64_e32 v[214:215], v[85:86], v[190:191]
	v_add_nc_u32_e32 v190, 0x3400, v254
	ds_load_b64 v[226:227], v254 offset:14960
	ds_load_2addr_b64 v[190:193], v190 offset0:96 offset1:151
	s_wait_loadcnt_dscnt 0x1704
	v_mul_f64_e32 v[228:229], v[95:96], v[200:201]
	v_mul_f64_e32 v[230:231], v[97:98], v[200:201]
	scratch_load_b64 v[200:201], off, off th:TH_LOAD_LU ; 8-byte Folded Reload
	s_wait_dscnt 0x3
	v_mul_f64_e32 v[216:217], v[87:88], v[196:197]
	v_mul_f64_e32 v[218:219], v[89:90], v[196:197]
	;; [unrolled: 1-line block ×4, first 2 shown]
	s_wait_loadcnt_dscnt 0x1702
	v_mul_f64_e32 v[232:233], v[99:100], v[204:205]
	v_mul_f64_e32 v[234:235], v[101:102], v[204:205]
	ds_load_2addr_b64 v[194:197], v254 offset1:55
	s_wait_loadcnt 0x16
	v_mul_f64_e32 v[236:237], v[103:104], v[202:203]
	v_mul_f64_e32 v[238:239], v[105:106], v[202:203]
	v_fma_f64 v[240:241], v[68:69], v[81:82], v[56:57]
	v_fma_f64 v[75:76], v[68:69], v[79:80], -v[75:76]
	s_wait_loadcnt_dscnt 0x1501
	v_mul_f64_e32 v[56:57], v[107:108], v[192:193]
	v_mul_f64_e32 v[192:193], v[109:110], v[192:193]
	v_fma_f64 v[212:213], v[66:67], v[85:86], v[212:213]
	v_fma_f64 v[214:215], v[66:67], v[83:84], -v[214:215]
	v_fma_f64 v[97:98], v[4:5], v[97:98], v[228:229]
	v_fma_f64 v[95:96], v[4:5], v[95:96], -v[230:231]
	v_fma_f64 v[216:217], v[64:65], v[89:90], v[216:217]
	v_fma_f64 v[218:219], v[64:65], v[87:88], -v[218:219]
	v_fma_f64 v[220:221], v[62:63], v[93:94], v[220:221]
	v_fma_f64 v[222:223], v[62:63], v[91:92], -v[222:223]
	v_fma_f64 v[101:102], v[60:61], v[101:102], v[232:233]
	v_fma_f64 v[60:61], v[60:61], v[99:100], -v[234:235]
	s_wait_loadcnt 0x11
	v_mul_f64_e32 v[99:100], v[123:124], v[226:227]
	v_mul_f64_e32 v[226:227], v[125:126], v[226:227]
	v_fma_f64 v[103:104], v[58:59], v[103:104], -v[238:239]
	v_fma_f64 v[105:106], v[58:59], v[105:106], v[236:237]
	v_fma_f64 v[109:110], v[54:55], v[109:110], v[56:57]
	v_fma_f64 v[107:108], v[54:55], v[107:108], -v[192:193]
	v_fma_f64 v[99:100], v[77:78], v[125:126], v[99:100]
	v_fma_f64 v[77:78], v[77:78], v[123:124], -v[226:227]
	s_wait_dscnt 0x0
	v_add_f64_e32 v[123:124], v[97:98], v[194:195]
	v_add_f64_e32 v[125:126], v[250:251], v[95:96]
	s_wait_loadcnt 0x0
	v_add_co_u32 v248, vcc_lo, s8, v200
	s_wait_alu 0xfffd
	v_add_co_ci_u32_e32 v249, vcc_lo, s9, v201, vcc_lo
	ds_load_2addr_b64 v[200:203], v245 offset0:2 offset1:57
	ds_load_2addr_b64 v[204:207], v206 offset0:94 offset1:149
	;; [unrolled: 1-line block ×5, first 2 shown]
	v_mul_f64_e32 v[242:243], v[111:112], v[190:191]
	v_mul_f64_e32 v[190:191], v[113:114], v[190:191]
	ds_load_2addr_b64 v[83:86], v245 offset0:112 offset1:167
	ds_load_2addr_b64 v[87:90], v247 offset0:114 offset1:169
	;; [unrolled: 1-line block ×4, first 2 shown]
	v_add_co_u32 v14, vcc_lo, v248, v14
	s_wait_alu 0xfffd
	v_add_co_ci_u32_e32 v15, vcc_lo, v249, v15, vcc_lo
	ds_load_2addr_b64 v[56:59], v254 offset0:110 offset1:165
	s_wait_dscnt 0x9
	v_mul_f64_e32 v[244:245], v[115:116], v[200:201]
	v_mul_f64_e32 v[200:201], v[117:118], v[200:201]
	s_wait_dscnt 0x7
	v_mul_f64_e32 v[224:225], v[119:120], v[208:209]
	v_mul_f64_e32 v[208:209], v[121:122], v[208:209]
	s_wait_dscnt 0x6
	v_mul_f64_e32 v[232:233], v[135:136], v[68:69]
	s_wait_dscnt 0x5
	v_mul_f64_e32 v[234:235], v[139:140], v[81:82]
	v_mul_f64_e32 v[68:69], v[137:138], v[68:69]
	;; [unrolled: 1-line block ×3, first 2 shown]
	s_wait_dscnt 0x4
	v_mul_f64_e32 v[192:193], v[151:152], v[85:86]
	v_mul_f64_e32 v[85:86], v[153:154], v[85:86]
	v_mul_f64_e32 v[238:239], v[159:160], v[83:84]
	v_mul_f64_e32 v[83:84], v[161:162], v[83:84]
	v_mul_f64_e32 v[228:229], v[127:128], v[206:207]
	v_mul_f64_e32 v[206:207], v[129:130], v[206:207]
	v_mul_f64_e32 v[230:231], v[131:132], v[204:205]
	v_mul_f64_e32 v[204:205], v[133:134], v[204:205]
	v_mul_f64_e32 v[236:237], v[157:158], v[66:67]
	v_fma_f64 v[54:55], v[52:53], v[113:114], v[242:243]
	v_fma_f64 v[52:53], v[52:53], v[111:112], -v[190:191]
	v_mul_f64_e32 v[111:112], v[155:156], v[66:67]
	v_mul_f64_e32 v[113:114], v[147:148], v[79:80]
	;; [unrolled: 1-line block ×3, first 2 shown]
	s_wait_dscnt 0x3
	v_mul_f64_e32 v[190:191], v[143:144], v[89:90]
	v_mul_f64_e32 v[89:90], v[145:146], v[89:90]
	s_wait_dscnt 0x1
	v_mul_f64_e32 v[242:243], v[171:172], v[93:94]
	v_mul_f64_e32 v[93:94], v[173:174], v[93:94]
	v_fma_f64 v[117:118], v[24:25], v[117:118], v[244:245]
	v_fma_f64 v[24:25], v[24:25], v[115:116], -v[200:201]
	v_mul_f64_e32 v[115:116], v[163:164], v[64:65]
	v_mul_f64_e32 v[200:201], v[167:168], v[87:88]
	;; [unrolled: 1-line block ×3, first 2 shown]
	v_fma_f64 v[121:122], v[28:29], v[121:122], v[224:225]
	v_fma_f64 v[28:29], v[28:29], v[119:120], -v[208:209]
	v_fma_f64 v[137:138], v[46:47], v[137:138], v[232:233]
	v_fma_f64 v[141:142], v[42:43], v[141:142], v[234:235]
	v_fma_f64 v[46:47], v[46:47], v[135:136], -v[68:69]
	v_fma_f64 v[42:43], v[42:43], v[139:140], -v[81:82]
	v_fma_f64 v[68:69], v[34:35], v[153:154], v[192:193]
	v_fma_f64 v[34:35], v[34:35], v[151:152], -v[85:86]
	v_mul_f64_e32 v[244:245], v[165:166], v[64:65]
	v_fma_f64 v[119:120], v[50:51], v[129:130], v[228:229]
	v_fma_f64 v[50:51], v[50:51], v[127:128], -v[206:207]
	v_mul_f64_e32 v[127:128], v[70:71], v[62:63]
	v_mul_f64_e32 v[62:63], v[72:73], v[62:63]
	;; [unrolled: 1-line block ×8, first 2 shown]
	v_fma_f64 v[81:82], v[44:45], v[157:158], v[111:112]
	v_fma_f64 v[111:112], v[40:41], v[149:150], v[113:114]
	v_fma_f64 v[40:41], v[40:41], v[147:148], -v[79:80]
	v_fma_f64 v[79:80], v[32:33], v[161:162], v[238:239]
	v_fma_f64 v[32:33], v[32:33], v[159:160], -v[83:84]
	;; [unrolled: 2-line block ×4, first 2 shown]
	v_fma_f64 v[38:39], v[38:39], v[143:144], -v[89:90]
	v_fma_f64 v[89:90], v[18:19], v[173:174], v[242:243]
	v_add_f64_e32 v[190:191], v[222:223], v[107:108]
	v_add_f64_e64 v[204:205], v[105:106], -v[109:110]
	ds_load_2addr_b64 v[64:67], v246 offset0:92 offset1:147
	v_add_f64_e32 v[83:84], v[117:118], v[123:124]
	v_add_f64_e64 v[139:140], v[24:25], -v[75:76]
	v_fma_f64 v[85:86], v[22:23], v[165:166], v[115:116]
	v_fma_f64 v[115:116], v[36:37], v[169:170], v[200:201]
	v_fma_f64 v[36:37], v[36:37], v[167:168], -v[87:88]
	v_add_f64_e32 v[87:88], v[24:25], v[125:126]
	v_add_f64_e64 v[131:132], v[95:96], -v[28:29]
	v_add_f64_e64 v[149:150], v[24:25], -v[95:96]
	;; [unrolled: 1-line block ×3, first 2 shown]
	v_add_f64_e32 v[153:154], v[95:96], v[28:29]
	v_add_f64_e64 v[95:96], v[95:96], -v[24:25]
	v_add_f64_e64 v[155:156], v[28:29], -v[75:76]
	v_add_f64_e32 v[24:25], v[24:25], v[75:76]
	v_add_f64_e32 v[165:166], v[218:219], v[77:78]
	;; [unrolled: 1-line block ×4, first 2 shown]
	v_fma_f64 v[127:128], v[20:21], v[72:73], v[127:128]
	v_fma_f64 v[20:21], v[20:21], v[70:71], -v[62:63]
	v_fma_f64 v[129:130], v[30:31], v[177:178], v[129:130]
	v_fma_f64 v[62:63], v[30:31], v[175:176], -v[206:207]
	;; [unrolled: 2-line block ×4, first 2 shown]
	v_add_f64_e32 v[175:176], v[220:221], v[109:110]
	v_add_f64_e32 v[179:180], v[137:138], v[54:55]
	;; [unrolled: 1-line block ×3, first 2 shown]
	v_add_f64_e64 v[188:189], v[119:120], -v[220:221]
	v_add_f64_e32 v[200:201], v[46:47], v[52:53]
	v_add_f64_e32 v[181:182], v[133:134], v[141:142]
	;; [unrolled: 1-line block ×8, first 2 shown]
	v_add_f64_e64 v[123:124], v[117:118], -v[97:98]
	v_add_f64_e64 v[125:126], v[240:241], -v[121:122]
	v_add_f64_e32 v[83:84], v[240:241], v[83:84]
	v_add_f64_e32 v[135:136], v[97:98], v[121:122]
	v_add_f64_e64 v[143:144], v[97:98], -v[117:118]
	v_add_f64_e32 v[224:225], v[85:86], v[115:116]
	v_add_f64_e64 v[145:146], v[121:122], -v[240:241]
	;; [unrolled: 2-line block ×3, first 2 shown]
	v_add_f64_e64 v[206:207], v[220:221], -v[119:120]
	v_add_f64_e64 v[228:229], v[109:110], -v[105:106]
	v_fma_f64 v[22:23], v[22:23], v[163:164], -v[244:245]
	v_fma_f64 v[93:94], v[18:19], v[171:172], -v[93:94]
	v_add_f64_e32 v[147:148], v[117:118], v[240:241]
	v_add_f64_e64 v[117:118], v[117:118], -v[240:241]
	v_fma_f64 v[165:166], v[165:166], -0.5, v[2:3]
	v_fma_f64 v[248:249], v[167:168], -0.5, v[2:3]
	v_add_f64_e64 v[240:241], v[50:51], -v[222:223]
	v_add_f64_e64 v[242:243], v[103:104], -v[107:108]
	v_add_f64_e32 v[177:178], v[119:120], v[105:106]
	s_wait_dscnt 0x0
	v_add_f64_e32 v[230:231], v[220:221], v[66:67]
	v_add_f64_e64 v[220:221], v[220:221], -v[109:110]
	v_add_f64_e64 v[183:184], v[133:134], -v[137:138]
	v_add_f64_e64 v[70:71], v[212:213], -v[216:217]
	v_add_f64_e64 v[72:73], v[101:102], -v[99:100]
	v_add_f64_e32 v[16:17], v[216:217], v[99:100]
	v_add_f64_e32 v[18:19], v[212:213], v[101:102]
	v_add_f64_e64 v[91:92], v[216:217], -v[212:213]
	v_add_f64_e64 v[161:162], v[99:100], -v[101:102]
	v_add_f64_e32 v[163:164], v[216:217], v[198:199]
	v_add_f64_e64 v[169:170], v[214:215], -v[218:219]
	v_add_f64_e64 v[171:172], v[60:61], -v[77:78]
	;; [unrolled: 1-line block ×6, first 2 shown]
	v_add_f64_e32 v[95:96], v[95:96], v[155:156]
	v_add_f64_e64 v[155:156], v[46:47], -v[48:49]
	v_add_f64_e32 v[167:168], v[127:128], v[129:130]
	v_add_f64_e32 v[123:124], v[123:124], v[125:126]
	;; [unrolled: 1-line block ×3, first 2 shown]
	v_fma_f64 v[83:84], v[175:176], -0.5, v[66:67]
	v_fma_f64 v[121:122], v[179:180], -0.5, v[64:65]
	;; [unrolled: 1-line block ×4, first 2 shown]
	v_add_f64_e32 v[2:3], v[75:76], v[28:29]
	v_fma_f64 v[181:182], v[200:201], -0.5, v[10:11]
	v_fma_f64 v[190:191], v[202:203], -0.5, v[10:11]
	;; [unrolled: 1-line block ×7, first 2 shown]
	v_add_f64_e32 v[64:65], v[137:138], v[64:65]
	v_add_f64_e32 v[236:237], v[22:23], v[36:37]
	;; [unrolled: 1-line block ×4, first 2 shown]
	v_fma_f64 v[66:67], v[177:178], -0.5, v[66:67]
	v_add_f64_e64 v[177:178], v[141:142], -v[54:55]
	v_add_f64_e64 v[125:126], v[54:55], -v[141:142]
	v_add_f64_e32 v[28:29], v[20:21], v[62:63]
	v_add_f64_e32 v[75:76], v[26:27], v[30:31]
	;; [unrolled: 1-line block ×3, first 2 shown]
	v_fma_f64 v[16:17], v[16:17], -0.5, v[198:199]
	v_fma_f64 v[198:199], v[18:19], -0.5, v[198:199]
	v_add_f64_e32 v[18:19], v[12:13], v[222:223]
	v_add_f64_e64 v[145:146], v[48:49], -v[46:47]
	v_add_f64_e32 v[70:71], v[70:71], v[72:73]
	v_add_f64_e64 v[72:73], v[111:112], -v[113:114]
	v_add_f64_e32 v[254:255], v[157:158], v[159:160]
	v_add_f64_e32 v[56:57], v[85:86], v[56:57]
	v_fma_f64 v[153:154], v[153:154], -0.5, v[250:251]
	v_add_f64_e32 v[91:92], v[91:92], v[161:162]
	v_add_f64_e64 v[161:162], v[81:82], -v[68:69]
	v_add_f64_e32 v[169:170], v[169:170], v[171:172]
	v_add_f64_e64 v[171:172], v[113:114], -v[111:112]
	;; [unrolled: 2-line block ×3, first 2 shown]
	v_add_f64_e32 v[163:164], v[212:213], v[163:164]
	v_add_f64_e32 v[186:187], v[214:215], v[186:187]
	;; [unrolled: 1-line block ×3, first 2 shown]
	v_fma_f64 v[135:136], v[135:136], -0.5, v[194:195]
	v_fma_f64 v[147:148], v[147:148], -0.5, v[194:195]
	scratch_store_b128 off, v[2:5], off     ; 16-byte Folded Spill
	v_fma_f64 v[2:3], v[192:193], -0.5, v[12:13]
	v_add_f64_e32 v[192:193], v[81:82], v[58:59]
	v_fma_f64 v[58:59], v[210:211], -0.5, v[58:59]
	v_add_f64_e32 v[210:211], v[8:9], v[44:45]
	v_add_f64_e32 v[8:9], v[188:189], v[204:205]
	;; [unrolled: 1-line block ×5, first 2 shown]
	v_fma_f64 v[232:233], v[236:237], -0.5, v[6:7]
	v_fma_f64 v[234:235], v[238:239], -0.5, v[6:7]
	v_add_f64_e64 v[6:7], v[137:138], -v[133:134]
	v_add_f64_e64 v[133:134], v[133:134], -v[141:142]
	v_add_f64_e32 v[238:239], v[149:150], v[151:152]
	v_add_f64_e64 v[151:152], v[42:43], -v[52:53]
	v_add_f64_e64 v[236:237], v[52:53], -v[42:43]
	v_fma_f64 v[149:150], v[24:25], -0.5, v[250:251]
	v_fma_f64 v[24:25], v[28:29], -0.5, v[252:253]
	;; [unrolled: 1-line block ×3, first 2 shown]
	v_add_f64_e64 v[75:76], v[68:69], -v[81:82]
	v_add_f64_e64 v[204:205], v[40:41], -v[38:39]
	v_add_f64_e32 v[250:251], v[50:51], v[18:19]
	v_fma_f64 v[167:168], v[167:168], -0.5, v[196:197]
	v_add_f64_e32 v[177:178], v[183:184], v[177:178]
	v_fma_f64 v[194:195], v[254:255], -0.5, v[196:197]
	v_add_f64_e32 v[196:197], v[127:128], v[196:197]
	v_mul_hi_u32 v18, 0x551c979b, v185
	v_add_f64_e64 v[183:184], v[36:37], -v[93:94]
	v_add_f64_e64 v[212:213], v[212:213], -v[101:102]
	;; [unrolled: 1-line block ×3, first 2 shown]
	v_add_f64_e32 v[161:162], v[161:162], v[171:172]
	v_add_f64_e64 v[171:172], v[22:23], -v[32:33]
	v_add_f64_e64 v[119:120], v[119:120], -v[105:106]
	v_add_f64_e32 v[101:102], v[101:102], v[163:164]
	v_add_f64_e64 v[163:164], v[26:27], -v[20:21]
	v_add_f64_e32 v[105:106], v[105:106], v[230:231]
	v_add_f64_e64 v[230:231], v[20:21], -v[26:27]
	v_add_f64_e64 v[218:219], v[218:219], -v[77:78]
	;; [unrolled: 1-line block ×3, first 2 shown]
	v_mul_hi_u32 v19, 0x551c979b, v0
	v_lshrrev_b32_e32 v18, 7, v18
	v_add_f64_e64 v[216:217], v[216:217], -v[99:100]
	v_add_f64_e64 v[46:47], v[46:47], -v[52:53]
	scratch_store_b64 off, v[8:9], off offset:32 ; 8-byte Folded Spill
	v_add_f64_e32 v[8:9], v[206:207], v[228:229]
	v_add_f64_e64 v[228:229], v[44:45], -v[34:35]
	v_add_f64_e32 v[64:65], v[141:142], v[64:65]
	v_fma_f64 v[141:142], v[220:221], s[14:15], v[2:3]
	v_lshrrev_b32_e32 v188, 7, v19
	v_add_f64_e32 v[252:253], v[6:7], v[125:126]
	v_add_f64_e64 v[6:7], v[85:86], -v[79:80]
	v_add_f64_e64 v[125:126], v[115:116], -v[89:90]
	v_add_f64_e32 v[206:207], v[145:146], v[151:152]
	v_add_f64_e32 v[145:146], v[155:156], v[236:237]
	v_add_f64_e64 v[155:156], v[32:33], -v[22:23]
	v_mul_u32_u24_e32 v0, 0x604, v18
	v_add_f64_e64 v[137:138], v[137:138], -v[54:55]
	v_add_f64_e32 v[236:237], v[75:76], v[72:73]
	v_add_f64_e64 v[75:76], v[93:94], -v[36:37]
	v_add_f64_e32 v[173:174], v[173:174], v[204:205]
	;; [unrolled: 2-line block ×5, first 2 shown]
	v_add_f64_e64 v[56:57], v[79:80], -v[89:90]
	v_add_f64_e64 v[44:45], v[44:45], -v[38:39]
	v_add_f64_e32 v[210:211], v[34:35], v[210:211]
	v_add_f64_e64 v[34:35], v[34:35], -v[40:41]
	v_add_f64_e32 v[192:193], v[68:69], v[192:193]
	v_add_f64_e64 v[81:82], v[81:82], -v[113:114]
	v_add_f64_e32 v[171:172], v[171:172], v[183:184]
	v_add_f64_e64 v[183:184], v[32:33], -v[93:94]
	v_fma_f64 v[72:73], v[97:98], s[6:7], v[149:150]
	v_add_f64_e32 v[18:19], v[26:27], v[12:13]
	v_add_f64_e32 v[151:152], v[99:100], v[101:102]
	v_fma_f64 v[99:100], v[212:213], s[6:7], v[165:166]
	v_fma_f64 v[101:102], v[212:213], s[14:15], v[165:166]
	v_add_f64_e64 v[68:69], v[68:69], -v[111:112]
	v_fma_f64 v[12:13], v[216:217], s[6:7], v[248:249]
	scratch_store_b64 off, v[8:9], off offset:16 ; 8-byte Folded Spill
	v_add_f64_e32 v[8:9], v[240:241], v[242:243]
	v_add_f64_e64 v[240:241], v[38:39], -v[40:41]
	v_add_f64_e32 v[242:243], v[244:245], v[246:247]
	v_add_f64_e64 v[244:245], v[79:80], -v[85:86]
	v_add_f64_e64 v[246:247], v[89:90], -v[115:116]
	;; [unrolled: 1-line block ×3, first 2 shown]
	v_add_f64_e32 v[125:126], v[6:7], v[125:126]
	v_add_f64_e64 v[6:7], v[127:128], -v[157:158]
	v_add_f64_e64 v[85:86], v[20:21], -v[62:63]
	v_add_f64_e32 v[20:21], v[32:33], v[4:5]
	v_add_f64_e64 v[32:33], v[26:27], -v[30:31]
	v_add_f64_e32 v[155:156], v[155:156], v[75:76]
	v_add_f64_e64 v[75:76], v[129:130], -v[159:160]
	v_fma_f64 v[26:27], v[204:205], s[14:15], v[16:17]
	v_fma_f64 v[16:17], v[204:205], s[6:7], v[16:17]
	v_add_f64_e32 v[163:164], v[163:164], v[185:186]
	v_fma_f64 v[185:186], v[117:118], s[6:7], v[153:154]
	v_fma_f64 v[153:154], v[117:118], s[14:15], v[153:154]
	v_add_f64_e32 v[4:5], v[103:104], v[107:108]
	;; [unrolled: 3-line block ×3, first 2 shown]
	v_add_f64_e32 v[89:90], v[89:90], v[22:23]
	v_add_f64_e32 v[111:112], v[111:112], v[192:193]
	v_fma_f64 v[22:23], v[46:47], s[6:7], v[175:176]
	v_fma_f64 v[175:176], v[46:47], s[14:15], v[175:176]
	;; [unrolled: 1-line block ×5, first 2 shown]
	v_add_f64_e32 v[18:19], v[18:19], v[30:31]
	v_fma_f64 v[99:100], v[216:217], s[12:13], v[99:100]
	v_fma_f64 v[101:102], v[216:217], s[2:3], v[101:102]
	v_lshlrev_b64_e32 v[248:249], 4, v[0:1]
	v_fma_f64 v[12:13], v[212:213], s[2:3], v[12:13]
	v_mul_u32_u24_e32 v0, 0x604, v188
	scratch_store_b64 off, v[8:9], off offset:24 ; 8-byte Folded Spill
	v_add_f64_e32 v[8:9], v[48:49], v[10:11]
	v_fma_f64 v[10:11], v[220:221], s[6:7], v[2:3]
	scratch_load_b64 v[2:3], off, off offset:32 th:TH_LOAD_LU ; 8-byte Folded Reload
	v_add_f64_e32 v[214:215], v[228:229], v[240:241]
	v_add_f64_e64 v[228:229], v[157:158], -v[127:128]
	v_add_f64_e32 v[240:241], v[244:245], v[246:247]
	v_add_f64_e64 v[244:245], v[159:160], -v[129:130]
	v_add_f64_e64 v[246:247], v[62:63], -v[30:31]
	;; [unrolled: 1-line block ×4, first 2 shown]
	v_add_f64_e32 v[93:94], v[20:21], v[93:94]
	v_fma_f64 v[20:21], v[133:134], s[6:7], v[181:182]
	v_fma_f64 v[30:31], v[183:184], s[14:15], v[202:203]
	v_add_f64_e32 v[254:255], v[6:7], v[75:76]
	v_fma_f64 v[75:76], v[139:140], s[14:15], v[135:136]
	v_fma_f64 v[135:136], v[139:140], s[6:7], v[135:136]
	;; [unrolled: 3-line block ×3, first 2 shown]
	v_fma_f64 v[109:110], v[119:120], s[14:15], v[179:180]
	v_fma_f64 v[185:186], v[97:98], s[12:13], v[185:186]
	;; [unrolled: 1-line block ×11, first 2 shown]
	v_add_f64_e32 v[8:9], v[8:9], v[42:43]
	v_fma_f64 v[42:43], v[119:120], s[6:7], v[179:180]
	v_fma_f64 v[179:180], v[133:134], s[14:15], v[181:182]
	;; [unrolled: 1-line block ×3, first 2 shown]
	v_add_f64_e32 v[228:229], v[228:229], v[244:245]
	v_add_f64_e64 v[244:245], v[157:158], -v[159:160]
	v_add_f64_e32 v[157:158], v[157:158], v[196:197]
	v_fma_f64 v[196:197], v[131:132], s[6:7], v[147:148]
	v_fma_f64 v[147:148], v[131:132], s[14:15], v[147:148]
	v_add_f64_e32 v[230:231], v[230:231], v[246:247]
	v_fma_f64 v[246:247], v[97:98], s[14:15], v[149:150]
	v_add_f64_e32 v[149:150], v[60:61], v[77:78]
	v_fma_f64 v[60:61], v[218:219], s[6:7], v[198:199]
	v_fma_f64 v[77:78], v[218:219], s[14:15], v[198:199]
	;; [unrolled: 1-line block ×17, first 2 shown]
	v_add_f64_e32 v[8:9], v[8:9], v[52:53]
	v_fma_f64 v[52:53], v[169:170], s[10:11], v[101:102]
	v_add_f64_e32 v[157:158], v[159:160], v[157:158]
	v_fma_f64 v[190:191], v[139:140], s[2:3], v[196:197]
	v_fma_f64 v[139:140], v[139:140], s[12:13], v[147:148]
	;; [unrolled: 1-line block ×15, first 2 shown]
	v_add_f64_e32 v[10:11], v[54:55], v[64:65]
	v_fma_f64 v[64:65], v[137:138], s[12:13], v[20:21]
	v_fma_f64 v[137:138], v[137:138], s[2:3], v[179:180]
	;; [unrolled: 1-line block ×16, first 2 shown]
	v_add_f64_e32 v[22:23], v[113:114], v[111:112]
	v_fma_f64 v[179:180], v[183:184], s[2:3], v[26:27]
	v_add_f64_e32 v[26:27], v[115:116], v[89:90]
	v_add_f64_e32 v[20:21], v[40:41], v[38:39]
	v_fma_f64 v[220:221], v[220:221], s[2:3], v[109:110]
	v_fma_f64 v[109:110], v[46:47], s[12:13], v[121:122]
	v_add_f64_e32 v[46:47], v[129:130], v[157:158]
	v_fma_f64 v[48:49], v[169:170], s[10:11], v[99:100]
	v_fma_f64 v[119:120], v[44:45], s[2:3], v[147:148]
	v_fma_f64 v[147:148], v[34:35], s[12:13], v[58:59]
	v_fma_f64 v[153:154], v[68:69], s[12:13], v[159:160]
	v_fma_f64 v[68:69], v[68:69], s[2:3], v[200:201]
	v_fma_f64 v[34:35], v[123:124], s[10:11], v[131:132]
	v_fma_f64 v[121:122], v[44:45], s[12:13], v[192:193]
	v_add_f64_e32 v[44:45], v[18:19], v[62:63]
	v_fma_f64 v[115:116], v[79:80], s[2:3], v[218:219]
	v_fma_f64 v[113:114], v[81:82], s[2:3], v[198:199]
	v_fma_f64 v[200:201], v[244:245], s[2:3], v[50:51]
	v_fma_f64 v[208:209], v[32:33], s[2:3], v[66:67]
	v_fma_f64 v[50:51], v[70:71], s[10:11], v[210:211]
	v_fma_f64 v[70:71], v[177:178], s[10:11], v[107:108]
	v_fma_f64 v[159:160], v[250:251], s[2:3], v[30:31]
	v_fma_f64 v[192:193], v[79:80], s[12:13], v[204:205]
	v_fma_f64 v[107:108], v[206:207], s[10:11], v[137:138]
	v_fma_f64 v[111:112], v[81:82], s[12:13], v[117:118]
	v_fma_f64 v[117:118], v[250:251], s[12:13], v[202:203]
	v_fma_f64 v[198:199], v[32:33], s[12:13], v[83:84]
	v_fma_f64 v[131:132], v[145:146], s[10:11], v[175:176]
	v_fma_f64 v[204:205], v[85:86], s[2:3], v[212:213]
	v_fma_f64 v[85:86], v[125:126], s[10:11], v[181:182]
	v_fma_f64 v[58:59], v[91:92], s[10:11], v[60:61]
	v_fma_f64 v[183:184], v[56:57], s[2:3], v[224:225]
	v_fma_f64 v[56:57], v[87:88], s[10:11], v[103:104]
	v_fma_f64 v[202:203], v[127:128], s[2:3], v[42:43]
	v_fma_f64 v[127:128], v[127:128], s[12:13], v[24:25]
	v_add_f64_e32 v[24:25], v[93:94], v[36:37]
	v_fma_f64 v[212:213], v[244:245], s[12:13], v[28:29]
	v_fma_f64 v[129:130], v[252:253], s[10:11], v[141:142]
	;; [unrolled: 1-line block ×39, first 2 shown]
	v_add_co_u32 v12, vcc_lo, v14, v248
	s_wait_alu 0xfffd
	v_add_co_ci_u32_e32 v13, vcc_lo, v15, v249, vcc_lo
	s_wait_loadcnt 0x0
	v_fma_f64 v[66:67], v[2:3], s[10:11], v[105:106]
	v_fma_f64 v[137:138], v[2:3], s[10:11], v[222:223]
	scratch_load_b64 v[2:3], off, off offset:16 th:TH_LOAD_LU ; 8-byte Folded Reload
	v_fma_f64 v[105:106], v[254:255], s[10:11], v[208:209]
	s_wait_loadcnt 0x0
	v_fma_f64 v[141:142], v[2:3], s[10:11], v[226:227]
	v_fma_f64 v[145:146], v[2:3], s[10:11], v[232:233]
	scratch_load_b64 v[2:3], off, off offset:24 th:TH_LOAD_LU ; 8-byte Folded Reload
	s_clause 0x1
	global_store_b128 v[14:15], v[24:27], off offset:1760
	global_store_b128 v[14:15], v[20:23], off offset:2640
	scratch_load_b128 v[16:19], off, off th:TH_LOAD_LU ; 16-byte Folded Reload
	s_wait_loadcnt 0x0
	s_clause 0xd
	global_store_b128 v[14:15], v[16:19], off
	global_store_b128 v[14:15], v[44:47], off offset:880
	global_store_b128 v[14:15], v[83:86], off offset:7920
	;; [unrolled: 1-line block ×13, first 2 shown]
	v_fma_f64 v[135:136], v[2:3], s[10:11], v[220:221]
	v_fma_f64 v[64:65], v[2:3], s[10:11], v[234:235]
	v_lshlrev_b64_e32 v[16:17], 4, v[0:1]
	s_clause 0x8
	global_store_b128 v[14:15], v[119:122], off offset:20240
	global_store_b128 v[14:15], v[111:114], off offset:21120
	global_store_b128 v[14:15], v[123:126], off offset:26400
	global_store_b128 v[14:15], v[115:118], off offset:27280
	global_store_b128 v[12:13], v[8:11], off offset:3520
	global_store_b128 v[12:13], v[131:134], off offset:9680
	global_store_b128 v[12:13], v[107:110], off offset:15840
	global_store_b128 v[12:13], v[68:71], off offset:22000
	global_store_b128 v[12:13], v[127:130], off offset:28160
	v_add_co_u32 v8, vcc_lo, v14, v16
	s_wait_alu 0xfffd
	v_add_co_ci_u32_e32 v9, vcc_lo, v15, v17, vcc_lo
	s_clause 0x9
	global_store_b128 v[14:15], v[4:7], off offset:4400
	global_store_b128 v[14:15], v[143:146], off offset:10560
	;; [unrolled: 1-line block ×10, first 2 shown]
.LBB0_21:
	s_endpgm
	.section	.rodata,"a",@progbits
	.p2align	6, 0x0
	.amdhsa_kernel fft_rtc_fwd_len1925_factors_7_11_5_5_wgs_55_tpt_55_halfLds_dp_ip_CI_unitstride_sbrr_dirReg
		.amdhsa_group_segment_fixed_size 0
		.amdhsa_private_segment_fixed_size 316
		.amdhsa_kernarg_size 88
		.amdhsa_user_sgpr_count 2
		.amdhsa_user_sgpr_dispatch_ptr 0
		.amdhsa_user_sgpr_queue_ptr 0
		.amdhsa_user_sgpr_kernarg_segment_ptr 1
		.amdhsa_user_sgpr_dispatch_id 0
		.amdhsa_user_sgpr_private_segment_size 0
		.amdhsa_wavefront_size32 1
		.amdhsa_uses_dynamic_stack 0
		.amdhsa_enable_private_segment 1
		.amdhsa_system_sgpr_workgroup_id_x 1
		.amdhsa_system_sgpr_workgroup_id_y 0
		.amdhsa_system_sgpr_workgroup_id_z 0
		.amdhsa_system_sgpr_workgroup_info 0
		.amdhsa_system_vgpr_workitem_id 0
		.amdhsa_next_free_vgpr 256
		.amdhsa_next_free_sgpr 36
		.amdhsa_reserve_vcc 1
		.amdhsa_float_round_mode_32 0
		.amdhsa_float_round_mode_16_64 0
		.amdhsa_float_denorm_mode_32 3
		.amdhsa_float_denorm_mode_16_64 3
		.amdhsa_fp16_overflow 0
		.amdhsa_workgroup_processor_mode 1
		.amdhsa_memory_ordered 1
		.amdhsa_forward_progress 0
		.amdhsa_round_robin_scheduling 0
		.amdhsa_exception_fp_ieee_invalid_op 0
		.amdhsa_exception_fp_denorm_src 0
		.amdhsa_exception_fp_ieee_div_zero 0
		.amdhsa_exception_fp_ieee_overflow 0
		.amdhsa_exception_fp_ieee_underflow 0
		.amdhsa_exception_fp_ieee_inexact 0
		.amdhsa_exception_int_div_zero 0
	.end_amdhsa_kernel
	.text
.Lfunc_end0:
	.size	fft_rtc_fwd_len1925_factors_7_11_5_5_wgs_55_tpt_55_halfLds_dp_ip_CI_unitstride_sbrr_dirReg, .Lfunc_end0-fft_rtc_fwd_len1925_factors_7_11_5_5_wgs_55_tpt_55_halfLds_dp_ip_CI_unitstride_sbrr_dirReg
                                        ; -- End function
	.section	.AMDGPU.csdata,"",@progbits
; Kernel info:
; codeLenInByte = 28712
; NumSgprs: 38
; NumVgprs: 256
; ScratchSize: 316
; MemoryBound: 1
; FloatMode: 240
; IeeeMode: 1
; LDSByteSize: 0 bytes/workgroup (compile time only)
; SGPRBlocks: 4
; VGPRBlocks: 31
; NumSGPRsForWavesPerEU: 38
; NumVGPRsForWavesPerEU: 256
; Occupancy: 5
; WaveLimiterHint : 1
; COMPUTE_PGM_RSRC2:SCRATCH_EN: 1
; COMPUTE_PGM_RSRC2:USER_SGPR: 2
; COMPUTE_PGM_RSRC2:TRAP_HANDLER: 0
; COMPUTE_PGM_RSRC2:TGID_X_EN: 1
; COMPUTE_PGM_RSRC2:TGID_Y_EN: 0
; COMPUTE_PGM_RSRC2:TGID_Z_EN: 0
; COMPUTE_PGM_RSRC2:TIDIG_COMP_CNT: 0
	.text
	.p2alignl 7, 3214868480
	.fill 96, 4, 3214868480
	.type	__hip_cuid_ff4bf3ff13d97537,@object ; @__hip_cuid_ff4bf3ff13d97537
	.section	.bss,"aw",@nobits
	.globl	__hip_cuid_ff4bf3ff13d97537
__hip_cuid_ff4bf3ff13d97537:
	.byte	0                               ; 0x0
	.size	__hip_cuid_ff4bf3ff13d97537, 1

	.ident	"AMD clang version 19.0.0git (https://github.com/RadeonOpenCompute/llvm-project roc-6.4.0 25133 c7fe45cf4b819c5991fe208aaa96edf142730f1d)"
	.section	".note.GNU-stack","",@progbits
	.addrsig
	.addrsig_sym __hip_cuid_ff4bf3ff13d97537
	.amdgpu_metadata
---
amdhsa.kernels:
  - .args:
      - .actual_access:  read_only
        .address_space:  global
        .offset:         0
        .size:           8
        .value_kind:     global_buffer
      - .offset:         8
        .size:           8
        .value_kind:     by_value
      - .actual_access:  read_only
        .address_space:  global
        .offset:         16
        .size:           8
        .value_kind:     global_buffer
      - .actual_access:  read_only
        .address_space:  global
        .offset:         24
        .size:           8
        .value_kind:     global_buffer
      - .offset:         32
        .size:           8
        .value_kind:     by_value
      - .actual_access:  read_only
        .address_space:  global
        .offset:         40
        .size:           8
        .value_kind:     global_buffer
      - .actual_access:  read_only
        .address_space:  global
        .offset:         48
        .size:           8
        .value_kind:     global_buffer
      - .offset:         56
        .size:           4
        .value_kind:     by_value
      - .actual_access:  read_only
        .address_space:  global
        .offset:         64
        .size:           8
        .value_kind:     global_buffer
      - .actual_access:  read_only
        .address_space:  global
        .offset:         72
        .size:           8
        .value_kind:     global_buffer
      - .address_space:  global
        .offset:         80
        .size:           8
        .value_kind:     global_buffer
    .group_segment_fixed_size: 0
    .kernarg_segment_align: 8
    .kernarg_segment_size: 88
    .language:       OpenCL C
    .language_version:
      - 2
      - 0
    .max_flat_workgroup_size: 55
    .name:           fft_rtc_fwd_len1925_factors_7_11_5_5_wgs_55_tpt_55_halfLds_dp_ip_CI_unitstride_sbrr_dirReg
    .private_segment_fixed_size: 316
    .sgpr_count:     38
    .sgpr_spill_count: 0
    .symbol:         fft_rtc_fwd_len1925_factors_7_11_5_5_wgs_55_tpt_55_halfLds_dp_ip_CI_unitstride_sbrr_dirReg.kd
    .uniform_work_group_size: 1
    .uses_dynamic_stack: false
    .vgpr_count:     256
    .vgpr_spill_count: 85
    .wavefront_size: 32
    .workgroup_processor_mode: 1
amdhsa.target:   amdgcn-amd-amdhsa--gfx1201
amdhsa.version:
  - 1
  - 2
...

	.end_amdgpu_metadata
